;; amdgpu-corpus repo=ROCm/rocFFT kind=compiled arch=gfx1201 opt=O3
	.text
	.amdgcn_target "amdgcn-amd-amdhsa--gfx1201"
	.amdhsa_code_object_version 6
	.protected	fft_rtc_fwd_len160_factors_4_10_4_wgs_192_tpt_16_half_ip_CI_sbcc_twdbase5_3step_dirReg ; -- Begin function fft_rtc_fwd_len160_factors_4_10_4_wgs_192_tpt_16_half_ip_CI_sbcc_twdbase5_3step_dirReg
	.globl	fft_rtc_fwd_len160_factors_4_10_4_wgs_192_tpt_16_half_ip_CI_sbcc_twdbase5_3step_dirReg
	.p2align	8
	.type	fft_rtc_fwd_len160_factors_4_10_4_wgs_192_tpt_16_half_ip_CI_sbcc_twdbase5_3step_dirReg,@function
fft_rtc_fwd_len160_factors_4_10_4_wgs_192_tpt_16_half_ip_CI_sbcc_twdbase5_3step_dirReg: ; @fft_rtc_fwd_len160_factors_4_10_4_wgs_192_tpt_16_half_ip_CI_sbcc_twdbase5_3step_dirReg
; %bb.0:
	s_load_b256 s[4:11], s[0:1], 0x8
	v_cmp_lt_u32_e64 s3, 0x5f, v0
	v_cmp_gt_u32_e64 s2, 0x60, v0
	s_mov_b32 s18, ttmp9
	s_delay_alu instid0(VALU_DEP_1)
	s_and_saveexec_b32 s12, s2
	s_cbranch_execz .LBB0_2
; %bb.1:
	v_lshlrev_b32_e32 v1, 2, v0
	s_wait_kmcnt 0x0
	global_load_b32 v2, v1, s[4:5]
	v_add_nc_u32_e32 v1, 0, v1
	s_wait_loadcnt 0x0
	ds_store_b32 v1, v2 offset:7680
.LBB0_2:
	s_or_b32 exec_lo, exec_lo, s12
	s_mov_b32 s19, 0
	s_wait_kmcnt 0x0
	s_mov_b32 s4, 0x55540000
	s_movk_i32 s5, 0x55
	s_mov_b32 s12, s19
	s_mov_b32 s13, s19
	;; [unrolled: 1-line block ×3, first 2 shown]
	s_add_nc_u64 s[12:13], s[12:13], s[4:5]
	s_load_b64 s[4:5], s[8:9], 0x8
	s_add_co_i32 s13, s13, 0x15555500
	s_mov_b64 s[26:27], 0
	s_mul_u64 s[14:15], s[12:13], -12
	s_delay_alu instid0(SALU_CYCLE_1)
	s_mul_hi_u32 s17, s12, s15
	s_mul_i32 s16, s12, s15
	s_mul_hi_u32 s20, s12, s14
	s_mul_hi_u32 s22, s13, s14
	s_mul_i32 s14, s13, s14
	s_add_nc_u64 s[16:17], s[20:21], s[16:17]
	s_mul_hi_u32 s20, s13, s15
	s_add_co_u32 s14, s16, s14
	s_add_co_ci_u32 s14, s17, s22
	s_add_co_ci_u32 s17, s20, 0
	s_mul_i32 s16, s13, s15
	s_mov_b32 s15, s19
	s_delay_alu instid0(SALU_CYCLE_1) | instskip(NEXT) | instid1(SALU_CYCLE_1)
	s_add_nc_u64 s[14:15], s[14:15], s[16:17]
	v_add_co_u32 v1, s12, s12, s14
	s_delay_alu instid0(VALU_DEP_1)
	s_cmp_lg_u32 s12, 0
	s_wait_kmcnt 0x0
	s_add_nc_u64 s[16:17], s[4:5], -1
	s_add_co_ci_u32 s21, s13, s15
	v_readfirstlane_b32 s20, v1
	s_mul_hi_u32 s13, s16, s21
	s_mul_i32 s12, s16, s21
	s_mov_b32 s15, s19
	s_delay_alu instid0(VALU_DEP_1)
	s_mul_hi_u32 s14, s16, s20
	s_wait_alu 0xfffe
	s_add_nc_u64 s[12:13], s[14:15], s[12:13]
	s_mul_i32 s15, s17, s20
	s_mul_hi_u32 s20, s17, s20
	s_mul_hi_u32 s14, s17, s21
	s_wait_alu 0xfffe
	s_add_co_u32 s12, s12, s15
	s_add_co_ci_u32 s12, s13, s20
	s_add_co_ci_u32 s15, s14, 0
	s_mul_i32 s14, s17, s21
	s_mov_b32 s13, s19
	s_wait_alu 0xfffe
	s_add_nc_u64 s[12:13], s[12:13], s[14:15]
	s_wait_alu 0xfffe
	s_mul_u64 s[14:15], s[12:13], 12
	s_wait_alu 0xfffe
	v_sub_co_u32 v1, s14, s16, s14
	s_delay_alu instid0(VALU_DEP_1) | instskip(SKIP_1) | instid1(VALU_DEP_1)
	s_cmp_lg_u32 s14, 0
	s_sub_co_ci_u32 s20, s17, s15
	v_sub_co_u32 v2, s16, v1, 12
	s_delay_alu instid0(VALU_DEP_1) | instskip(SKIP_2) | instid1(VALU_DEP_2)
	s_cmp_lg_u32 s16, 0
	v_readfirstlane_b32 s22, v1
	s_sub_co_ci_u32 s16, s20, 0
	v_readfirstlane_b32 s14, v2
	s_delay_alu instid0(VALU_DEP_1)
	s_cmp_gt_u32 s14, 11
	s_add_nc_u64 s[14:15], s[12:13], 1
	s_cselect_b32 s21, -1, 0
	s_wait_alu 0xfffe
	s_cmp_eq_u32 s16, 0
	s_add_nc_u64 s[16:17], s[12:13], 2
	s_cselect_b32 s21, s21, -1
	s_delay_alu instid0(SALU_CYCLE_1)
	s_cmp_lg_u32 s21, 0
	s_wait_alu 0xfffe
	s_cselect_b32 s14, s16, s14
	s_cselect_b32 s15, s17, s15
	s_cmp_gt_u32 s22, 11
	s_cselect_b32 s16, -1, 0
	s_cmp_eq_u32 s20, 0
	s_wait_alu 0xfffe
	s_cselect_b32 s16, s16, -1
	s_wait_alu 0xfffe
	s_cmp_lg_u32 s16, 0
	s_cselect_b32 s13, s15, s13
	s_cselect_b32 s12, s14, s12
	s_wait_alu 0xfffe
	s_add_nc_u64 s[20:21], s[12:13], 1
	s_delay_alu instid0(SALU_CYCLE_1) | instskip(NEXT) | instid1(VALU_DEP_1)
	v_cmp_lt_u64_e64 s12, s[18:19], s[20:21]
	s_and_b32 vcc_lo, exec_lo, s12
	s_cbranch_vccnz .LBB0_4
; %bb.3:
	v_cvt_f32_u32_e32 v1, s20
	s_sub_co_i32 s13, 0, s20
	s_mov_b32 s27, s19
	s_delay_alu instid0(VALU_DEP_1) | instskip(NEXT) | instid1(TRANS32_DEP_1)
	v_rcp_iflag_f32_e32 v1, v1
	v_mul_f32_e32 v1, 0x4f7ffffe, v1
	s_delay_alu instid0(VALU_DEP_1) | instskip(NEXT) | instid1(VALU_DEP_1)
	v_cvt_u32_f32_e32 v1, v1
	v_readfirstlane_b32 s12, v1
	s_wait_alu 0xfffe
	s_delay_alu instid0(VALU_DEP_1)
	s_mul_i32 s13, s13, s12
	s_wait_alu 0xfffe
	s_mul_hi_u32 s13, s12, s13
	s_wait_alu 0xfffe
	s_add_co_i32 s12, s12, s13
	s_wait_alu 0xfffe
	s_mul_hi_u32 s12, s18, s12
	s_wait_alu 0xfffe
	s_mul_i32 s13, s12, s20
	s_add_co_i32 s14, s12, 1
	s_wait_alu 0xfffe
	s_sub_co_i32 s13, s18, s13
	s_wait_alu 0xfffe
	s_sub_co_i32 s15, s13, s20
	s_cmp_ge_u32 s13, s20
	s_cselect_b32 s12, s14, s12
	s_wait_alu 0xfffe
	s_cselect_b32 s13, s15, s13
	s_add_co_i32 s14, s12, 1
	s_wait_alu 0xfffe
	s_cmp_ge_u32 s13, s20
	s_cselect_b32 s26, s14, s12
.LBB0_4:
	s_load_b128 s[12:15], s[10:11], 0x0
	s_load_b64 s[16:17], s[0:1], 0x0
	v_cmp_lt_u64_e64 s24, s[6:7], 3
	s_mul_u64 s[22:23], s[26:27], s[20:21]
	s_delay_alu instid0(SALU_CYCLE_1) | instskip(NEXT) | instid1(SALU_CYCLE_1)
	s_sub_nc_u64 s[22:23], s[18:19], s[22:23]
	s_mul_u64 s[22:23], s[22:23], 12
	s_delay_alu instid0(VALU_DEP_1)
	s_and_b32 vcc_lo, exec_lo, s24
	s_wait_kmcnt 0x0
	s_mul_u64 s[24:25], s[14:15], s[22:23]
	s_cbranch_vccnz .LBB0_14
; %bb.5:
	s_add_nc_u64 s[28:29], s[10:11], 16
	s_add_nc_u64 s[8:9], s[8:9], 16
	s_mov_b64 s[30:31], 2
	s_mov_b32 s34, 0
.LBB0_6:                                ; =>This Inner Loop Header: Depth=1
	s_load_b64 s[36:37], s[8:9], 0x0
                                        ; implicit-def: $sgpr40_sgpr41
	s_wait_kmcnt 0x0
	s_or_b64 s[38:39], s[26:27], s[36:37]
	s_delay_alu instid0(SALU_CYCLE_1)
	s_mov_b32 s35, s39
	s_mov_b32 s39, -1
	s_cmp_lg_u64 s[34:35], 0
	s_cbranch_scc0 .LBB0_8
; %bb.7:                                ;   in Loop: Header=BB0_6 Depth=1
	s_cvt_f32_u32 s33, s36
	s_cvt_f32_u32 s35, s37
	s_sub_nc_u64 s[42:43], 0, s[36:37]
	s_mov_b32 s39, 0
	s_mov_b32 s47, s34
	s_wait_alu 0xfffe
	s_fmamk_f32 s33, s35, 0x4f800000, s33
	s_wait_alu 0xfffe
	s_delay_alu instid0(SALU_CYCLE_2) | instskip(NEXT) | instid1(TRANS32_DEP_1)
	v_s_rcp_f32 s33, s33
	s_mul_f32 s33, s33, 0x5f7ffffc
	s_wait_alu 0xfffe
	s_delay_alu instid0(SALU_CYCLE_2) | instskip(NEXT) | instid1(SALU_CYCLE_3)
	s_mul_f32 s35, s33, 0x2f800000
	s_trunc_f32 s35, s35
	s_delay_alu instid0(SALU_CYCLE_3) | instskip(SKIP_2) | instid1(SALU_CYCLE_1)
	s_fmamk_f32 s33, s35, 0xcf800000, s33
	s_cvt_u32_f32 s41, s35
	s_wait_alu 0xfffe
	s_cvt_u32_f32 s40, s33
	s_wait_alu 0xfffe
	s_delay_alu instid0(SALU_CYCLE_2)
	s_mul_u64 s[44:45], s[42:43], s[40:41]
	s_wait_alu 0xfffe
	s_mul_hi_u32 s49, s40, s45
	s_mul_i32 s48, s40, s45
	s_mul_hi_u32 s38, s40, s44
	s_mul_i32 s35, s41, s44
	s_add_nc_u64 s[48:49], s[38:39], s[48:49]
	s_mul_hi_u32 s33, s41, s44
	s_mul_hi_u32 s50, s41, s45
	s_add_co_u32 s35, s48, s35
	s_wait_alu 0xfffe
	s_add_co_ci_u32 s46, s49, s33
	s_mul_i32 s44, s41, s45
	s_add_co_ci_u32 s45, s50, 0
	s_wait_alu 0xfffe
	s_add_nc_u64 s[44:45], s[46:47], s[44:45]
	s_wait_alu 0xfffe
	v_add_co_u32 v1, s33, s40, s44
	s_delay_alu instid0(VALU_DEP_1) | instskip(SKIP_1) | instid1(VALU_DEP_1)
	s_cmp_lg_u32 s33, 0
	s_add_co_ci_u32 s41, s41, s45
	v_readfirstlane_b32 s40, v1
	s_mov_b32 s45, s34
	s_wait_alu 0xfffe
	s_delay_alu instid0(VALU_DEP_1)
	s_mul_u64 s[42:43], s[42:43], s[40:41]
	s_wait_alu 0xfffe
	s_mul_hi_u32 s47, s40, s43
	s_mul_i32 s46, s40, s43
	s_mul_hi_u32 s38, s40, s42
	s_mul_i32 s35, s41, s42
	s_add_nc_u64 s[46:47], s[38:39], s[46:47]
	s_mul_hi_u32 s33, s41, s42
	s_mul_hi_u32 s40, s41, s43
	s_add_co_u32 s35, s46, s35
	s_wait_alu 0xfffe
	s_add_co_ci_u32 s44, s47, s33
	s_mul_i32 s42, s41, s43
	s_add_co_ci_u32 s43, s40, 0
	s_wait_alu 0xfffe
	s_add_nc_u64 s[42:43], s[44:45], s[42:43]
	s_wait_alu 0xfffe
	v_add_co_u32 v1, s33, v1, s42
	s_delay_alu instid0(VALU_DEP_1) | instskip(SKIP_1) | instid1(VALU_DEP_1)
	s_cmp_lg_u32 s33, 0
	s_add_co_ci_u32 s33, s41, s43
	v_readfirstlane_b32 s35, v1
	s_wait_alu 0xfffe
	s_mul_hi_u32 s41, s26, s33
	s_mul_i32 s40, s26, s33
	s_mul_hi_u32 s43, s27, s33
	s_mul_i32 s42, s27, s33
	;; [unrolled: 2-line block ×3, first 2 shown]
	s_wait_alu 0xfffe
	s_add_nc_u64 s[40:41], s[38:39], s[40:41]
	s_mul_hi_u32 s35, s27, s35
	s_wait_alu 0xfffe
	s_add_co_u32 s33, s40, s33
	s_add_co_ci_u32 s44, s41, s35
	s_add_co_ci_u32 s43, s43, 0
	s_wait_alu 0xfffe
	s_add_nc_u64 s[40:41], s[44:45], s[42:43]
	s_wait_alu 0xfffe
	s_mul_u64 s[42:43], s[36:37], s[40:41]
	s_add_nc_u64 s[44:45], s[40:41], 1
	s_wait_alu 0xfffe
	v_sub_co_u32 v1, s33, s26, s42
	s_sub_co_i32 s35, s27, s43
	s_cmp_lg_u32 s33, 0
	s_add_nc_u64 s[46:47], s[40:41], 2
	s_delay_alu instid0(VALU_DEP_1) | instskip(SKIP_2) | instid1(VALU_DEP_1)
	v_sub_co_u32 v2, s38, v1, s36
	s_sub_co_ci_u32 s35, s35, s37
	s_cmp_lg_u32 s38, 0
	v_readfirstlane_b32 s38, v2
	s_sub_co_ci_u32 s35, s35, 0
	s_delay_alu instid0(SALU_CYCLE_1) | instskip(SKIP_1) | instid1(VALU_DEP_1)
	s_cmp_ge_u32 s35, s37
	s_cselect_b32 s42, -1, 0
	s_cmp_ge_u32 s38, s36
	s_cselect_b32 s38, -1, 0
	s_cmp_eq_u32 s35, s37
	s_wait_alu 0xfffe
	s_cselect_b32 s35, s38, s42
	s_delay_alu instid0(SALU_CYCLE_1)
	s_cmp_lg_u32 s35, 0
	s_cselect_b32 s35, s46, s44
	s_cselect_b32 s38, s47, s45
	s_cmp_lg_u32 s33, 0
	v_readfirstlane_b32 s33, v1
	s_sub_co_ci_u32 s42, s27, s43
	s_wait_alu 0xfffe
	s_cmp_ge_u32 s42, s37
	s_cselect_b32 s43, -1, 0
	s_cmp_ge_u32 s33, s36
	s_cselect_b32 s33, -1, 0
	s_cmp_eq_u32 s42, s37
	s_wait_alu 0xfffe
	s_cselect_b32 s33, s33, s43
	s_wait_alu 0xfffe
	s_cmp_lg_u32 s33, 0
	s_cselect_b32 s41, s38, s41
	s_cselect_b32 s40, s35, s40
.LBB0_8:                                ;   in Loop: Header=BB0_6 Depth=1
	s_and_not1_b32 vcc_lo, exec_lo, s39
	s_cbranch_vccnz .LBB0_10
; %bb.9:                                ;   in Loop: Header=BB0_6 Depth=1
	v_cvt_f32_u32_e32 v1, s36
	s_sub_co_i32 s35, 0, s36
	s_mov_b32 s41, s34
	s_delay_alu instid0(VALU_DEP_1) | instskip(NEXT) | instid1(TRANS32_DEP_1)
	v_rcp_iflag_f32_e32 v1, v1
	v_mul_f32_e32 v1, 0x4f7ffffe, v1
	s_delay_alu instid0(VALU_DEP_1) | instskip(NEXT) | instid1(VALU_DEP_1)
	v_cvt_u32_f32_e32 v1, v1
	v_readfirstlane_b32 s33, v1
	s_delay_alu instid0(VALU_DEP_1) | instskip(NEXT) | instid1(SALU_CYCLE_1)
	s_mul_i32 s35, s35, s33
	s_mul_hi_u32 s35, s33, s35
	s_delay_alu instid0(SALU_CYCLE_1)
	s_add_co_i32 s33, s33, s35
	s_wait_alu 0xfffe
	s_mul_hi_u32 s33, s26, s33
	s_wait_alu 0xfffe
	s_mul_i32 s35, s33, s36
	s_add_co_i32 s38, s33, 1
	s_sub_co_i32 s35, s26, s35
	s_delay_alu instid0(SALU_CYCLE_1)
	s_sub_co_i32 s39, s35, s36
	s_cmp_ge_u32 s35, s36
	s_cselect_b32 s33, s38, s33
	s_cselect_b32 s35, s39, s35
	s_wait_alu 0xfffe
	s_add_co_i32 s38, s33, 1
	s_cmp_ge_u32 s35, s36
	s_cselect_b32 s40, s38, s33
.LBB0_10:                               ;   in Loop: Header=BB0_6 Depth=1
	s_load_b64 s[38:39], s[28:29], 0x0
	s_add_nc_u64 s[30:31], s[30:31], 1
	s_mul_u64 s[20:21], s[36:37], s[20:21]
	s_wait_alu 0xfffe
	v_cmp_ge_u64_e64 s33, s[30:31], s[6:7]
	s_mul_u64 s[36:37], s[40:41], s[36:37]
	s_add_nc_u64 s[28:29], s[28:29], 8
	s_wait_alu 0xfffe
	s_sub_nc_u64 s[26:27], s[26:27], s[36:37]
	s_add_nc_u64 s[8:9], s[8:9], 8
	s_and_b32 vcc_lo, exec_lo, s33
	s_wait_kmcnt 0x0
	s_wait_alu 0xfffe
	s_mul_u64 s[26:27], s[38:39], s[26:27]
	s_wait_alu 0xfffe
	s_add_nc_u64 s[24:25], s[26:27], s[24:25]
	s_cbranch_vccnz .LBB0_12
; %bb.11:                               ;   in Loop: Header=BB0_6 Depth=1
	s_mov_b64 s[26:27], s[40:41]
	s_branch .LBB0_6
.LBB0_12:
	v_cmp_lt_u64_e64 s8, s[18:19], s[20:21]
	s_mov_b64 s[26:27], 0
	s_delay_alu instid0(VALU_DEP_1)
	s_and_b32 vcc_lo, exec_lo, s8
	s_cbranch_vccnz .LBB0_14
; %bb.13:
	v_cvt_f32_u32_e32 v1, s20
	s_sub_co_i32 s9, 0, s20
	s_mov_b32 s27, 0
	s_delay_alu instid0(VALU_DEP_1) | instskip(NEXT) | instid1(TRANS32_DEP_1)
	v_rcp_iflag_f32_e32 v1, v1
	v_mul_f32_e32 v1, 0x4f7ffffe, v1
	s_delay_alu instid0(VALU_DEP_1) | instskip(NEXT) | instid1(VALU_DEP_1)
	v_cvt_u32_f32_e32 v1, v1
	v_readfirstlane_b32 s8, v1
	s_delay_alu instid0(VALU_DEP_1) | instskip(NEXT) | instid1(SALU_CYCLE_1)
	s_mul_i32 s9, s9, s8
	s_mul_hi_u32 s9, s8, s9
	s_delay_alu instid0(SALU_CYCLE_1) | instskip(NEXT) | instid1(SALU_CYCLE_1)
	s_add_co_i32 s8, s8, s9
	s_mul_hi_u32 s8, s18, s8
	s_delay_alu instid0(SALU_CYCLE_1) | instskip(NEXT) | instid1(SALU_CYCLE_1)
	s_mul_i32 s9, s8, s20
	s_sub_co_i32 s9, s18, s9
	s_add_co_i32 s18, s8, 1
	s_sub_co_i32 s19, s9, s20
	s_cmp_ge_u32 s9, s20
	s_wait_alu 0xfffe
	s_cselect_b32 s8, s18, s8
	s_cselect_b32 s9, s19, s9
	s_add_co_i32 s18, s8, 1
	s_cmp_ge_u32 s9, s20
	s_wait_alu 0xfffe
	s_cselect_b32 s26, s18, s8
.LBB0_14:
	s_lshl_b64 s[6:7], s[6:7], 3
	v_mul_hi_u32 v18, 0x15555556, v0
	s_wait_alu 0xfffe
	s_add_nc_u64 s[6:7], s[10:11], s[6:7]
	s_load_b64 s[0:1], s[0:1], 0x58
	s_load_b64 s[6:7], s[6:7], 0x0
	s_add_nc_u64 s[8:9], s[22:23], 12
	s_delay_alu instid0(SALU_CYCLE_1) | instskip(NEXT) | instid1(VALU_DEP_2)
	v_cmp_le_u64_e64 s8, s[8:9], s[4:5]
	v_mul_u32_u24_e32 v1, 12, v18
	s_delay_alu instid0(VALU_DEP_2) | instskip(NEXT) | instid1(VALU_DEP_1)
	s_and_b32 vcc_lo, exec_lo, s8
	v_sub_nc_u32_e32 v19, v0, v1
	v_add_nc_u32_e32 v0, 16, v18
	s_delay_alu instid0(VALU_DEP_2)
	v_add_co_u32 v9, s9, s22, v19
	s_wait_alu 0xf1ff
	v_add_co_ci_u32_e64 v10, null, s23, 0, s9
	s_wait_kmcnt 0x0
	s_mul_u64 s[6:7], s[6:7], s[26:27]
	s_wait_alu 0xfffe
	s_add_nc_u64 s[6:7], s[6:7], s[24:25]
	s_cbranch_vccz .LBB0_18
; %bb.15:
	v_mad_co_u64_u32 v[1:2], null, s14, v19, 0
	v_mad_co_u64_u32 v[3:4], null, s12, v18, 0
	v_add_nc_u32_e32 v8, 40, v18
	s_wait_alu 0xfffe
	s_lshl_b64 s[10:11], s[6:7], 2
	v_or_b32_e32 v29, 0x60, v18
	s_add_nc_u64 s[10:11], s[0:1], s[10:11]
	s_delay_alu instid0(VALU_DEP_3) | instskip(SKIP_2) | instid1(VALU_DEP_3)
	v_mad_co_u64_u32 v[5:6], null, s15, v19, v[2:3]
	v_add_nc_u32_e32 v13, 0x50, v18
	v_mad_co_u64_u32 v[6:7], null, s12, v8, 0
	v_mov_b32_e32 v2, v5
	s_delay_alu instid0(VALU_DEP_3) | instskip(SKIP_1) | instid1(VALU_DEP_4)
	v_mad_co_u64_u32 v[15:16], null, s12, v13, 0
	v_mad_co_u64_u32 v[11:12], null, s13, v18, v[4:5]
	v_mov_b32_e32 v5, v7
	v_add_nc_u32_e32 v17, 0x78, v18
	v_lshlrev_b64_e32 v[1:2], 2, v[1:2]
	s_delay_alu instid0(VALU_DEP_4) | instskip(NEXT) | instid1(VALU_DEP_4)
	v_dual_mov_b32 v7, v16 :: v_dual_mov_b32 v4, v11
	v_mad_co_u64_u32 v[11:12], null, s13, v8, v[5:6]
	s_delay_alu instid0(VALU_DEP_2) | instskip(NEXT) | instid1(VALU_DEP_3)
	v_mad_co_u64_u32 v[12:13], null, s13, v13, v[7:8]
	v_lshlrev_b64_e32 v[3:4], 2, v[3:4]
	v_add_co_u32 v13, vcc_lo, s10, v1
	v_mad_co_u64_u32 v[20:21], null, s12, v17, 0
	v_add_co_ci_u32_e32 v14, vcc_lo, s11, v2, vcc_lo
	v_dual_mov_b32 v16, v12 :: v_dual_mov_b32 v7, v11
	v_add_nc_u32_e32 v12, 56, v18
	v_add_nc_u32_e32 v11, 16, v18
	v_add_co_u32 v1, vcc_lo, v13, v3
	s_wait_alu 0xfffd
	v_add_co_ci_u32_e32 v2, vcc_lo, v14, v4, vcc_lo
	v_lshlrev_b64_e32 v[3:4], 2, v[6:7]
	v_mad_co_u64_u32 v[6:7], null, s12, v11, 0
	v_mov_b32_e32 v5, v21
	s_delay_alu instid0(VALU_DEP_3) | instskip(SKIP_1) | instid1(VALU_DEP_4)
	v_add_co_u32 v24, vcc_lo, v13, v3
	s_wait_alu 0xfffd
	v_add_co_ci_u32_e32 v25, vcc_lo, v14, v4, vcc_lo
	s_delay_alu instid0(VALU_DEP_3) | instskip(SKIP_4) | instid1(VALU_DEP_2)
	v_mad_co_u64_u32 v[21:22], null, s13, v17, v[5:6]
	v_mad_co_u64_u32 v[22:23], null, s12, v12, 0
	v_lshlrev_b64_e32 v[4:5], 2, v[15:16]
	v_mov_b32_e32 v3, v7
	v_mad_co_u64_u32 v[15:16], null, s12, v29, 0
	v_mad_co_u64_u32 v[7:8], null, s13, v11, v[3:4]
	v_dual_mov_b32 v3, v23 :: v_dual_add_nc_u32 v8, 0x88, v18
	s_delay_alu instid0(VALU_DEP_1) | instskip(NEXT) | instid1(VALU_DEP_2)
	v_mad_co_u64_u32 v[26:27], null, s13, v12, v[3:4]
	v_mad_co_u64_u32 v[27:28], null, s12, v8, 0
	v_add_co_u32 v4, vcc_lo, v13, v4
	v_mov_b32_e32 v3, v16
	v_lshlrev_b64_e32 v[16:17], 2, v[20:21]
	v_mov_b32_e32 v23, v26
	v_lshlrev_b64_e32 v[6:7], 2, v[6:7]
	s_wait_alu 0xfffd
	v_add_co_ci_u32_e32 v5, vcc_lo, v14, v5, vcc_lo
	v_mad_co_u64_u32 v[20:21], null, s13, v29, v[3:4]
	v_mov_b32_e32 v3, v28
	v_add_co_u32 v29, vcc_lo, v13, v16
	s_wait_alu 0xfffd
	v_add_co_ci_u32_e32 v30, vcc_lo, v14, v17, vcc_lo
	s_delay_alu instid0(VALU_DEP_3)
	v_mad_co_u64_u32 v[31:32], null, s13, v8, v[3:4]
	v_mov_b32_e32 v16, v20
	v_lshlrev_b64_e32 v[21:22], 2, v[22:23]
	v_add_co_u32 v32, vcc_lo, v13, v6
	s_wait_alu 0xfffd
	v_add_co_ci_u32_e32 v33, vcc_lo, v14, v7, vcc_lo
	v_mov_b32_e32 v28, v31
	v_lshlrev_b64_e32 v[6:7], 2, v[15:16]
	v_add_co_u32 v15, vcc_lo, v13, v21
	s_wait_alu 0xfffd
	v_add_co_ci_u32_e32 v16, vcc_lo, v14, v22, vcc_lo
	v_lshlrev_b64_e32 v[20:21], 2, v[27:28]
	s_delay_alu instid0(VALU_DEP_4) | instskip(SKIP_2) | instid1(VALU_DEP_3)
	v_add_co_u32 v22, vcc_lo, v13, v6
	s_wait_alu 0xfffd
	v_add_co_ci_u32_e32 v23, vcc_lo, v14, v7, vcc_lo
                                        ; implicit-def: $vgpr12
                                        ; implicit-def: $vgpr17
	v_add_co_u32 v20, vcc_lo, v13, v20
	s_wait_alu 0xfffd
	v_add_co_ci_u32_e32 v21, vcc_lo, v14, v21, vcc_lo
	s_clause 0x7
	global_load_b32 v3, v[1:2], off
	global_load_b32 v2, v[24:25], off
	;; [unrolled: 1-line block ×8, first 2 shown]
                                        ; implicit-def: $vgpr16
                                        ; implicit-def: $vgpr15
	s_and_saveexec_b32 s9, s2
	s_cbranch_execz .LBB0_17
; %bb.16:
	v_or_b32_e32 v26, 32, v18
	v_or_b32_e32 v28, 0x70, v18
	s_delay_alu instid0(VALU_DEP_2) | instskip(SKIP_1) | instid1(VALU_DEP_3)
	v_mad_co_u64_u32 v[15:16], null, s12, v26, 0
	v_add_nc_u32_e32 v27, 0x48, v18
	v_mad_co_u64_u32 v[22:23], null, s12, v28, 0
	s_delay_alu instid0(VALU_DEP_3) | instskip(NEXT) | instid1(VALU_DEP_3)
	v_mov_b32_e32 v12, v16
	v_mad_co_u64_u32 v[20:21], null, s12, v27, 0
	s_delay_alu instid0(VALU_DEP_1) | instskip(NEXT) | instid1(VALU_DEP_1)
	v_dual_mov_b32 v16, v21 :: v_dual_add_nc_u32 v29, 0x98, v18
	v_mad_co_u64_u32 v[24:25], null, s12, v29, 0
	s_delay_alu instid0(VALU_DEP_1) | instskip(SKIP_2) | instid1(VALU_DEP_1)
	v_mov_b32_e32 v21, v25
	v_mad_co_u64_u32 v[25:26], null, s13, v26, v[12:13]
	v_mov_b32_e32 v17, v23
	v_mad_co_u64_u32 v[26:27], null, s13, v27, v[16:17]
	s_delay_alu instid0(VALU_DEP_3) | instskip(SKIP_2) | instid1(VALU_DEP_3)
	v_mov_b32_e32 v16, v25
	v_mad_co_u64_u32 v[27:28], null, s13, v28, v[17:18]
	v_mad_co_u64_u32 v[28:29], null, s13, v29, v[21:22]
	v_lshlrev_b64_e32 v[15:16], 2, v[15:16]
	v_mov_b32_e32 v21, v26
	s_delay_alu instid0(VALU_DEP_4) | instskip(NEXT) | instid1(VALU_DEP_2)
	v_mov_b32_e32 v23, v27
	v_lshlrev_b64_e32 v[20:21], 2, v[20:21]
	v_mov_b32_e32 v25, v28
	v_add_co_u32 v15, vcc_lo, v13, v15
	s_delay_alu instid0(VALU_DEP_4)
	v_lshlrev_b64_e32 v[22:23], 2, v[22:23]
	s_wait_alu 0xfffd
	v_add_co_ci_u32_e32 v16, vcc_lo, v14, v16, vcc_lo
	v_add_co_u32 v20, vcc_lo, v13, v20
	v_lshlrev_b64_e32 v[24:25], 2, v[24:25]
	s_wait_alu 0xfffd
	v_add_co_ci_u32_e32 v21, vcc_lo, v14, v21, vcc_lo
	v_add_co_u32 v22, vcc_lo, v13, v22
	s_wait_alu 0xfffd
	v_add_co_ci_u32_e32 v23, vcc_lo, v14, v23, vcc_lo
	v_add_co_u32 v13, vcc_lo, v13, v24
	s_wait_alu 0xfffd
	v_add_co_ci_u32_e32 v14, vcc_lo, v14, v25, vcc_lo
	s_clause 0x3
	global_load_b32 v15, v[15:16], off
	global_load_b32 v12, v[20:21], off
	global_load_b32 v17, v[22:23], off
	global_load_b32 v16, v[13:14], off
.LBB0_17:
	s_wait_alu 0xfffe
	s_or_b32 exec_lo, exec_lo, s9
	s_cbranch_execz .LBB0_19
	s_branch .LBB0_26
.LBB0_18:
                                        ; implicit-def: $vgpr7
                                        ; implicit-def: $vgpr2
                                        ; implicit-def: $vgpr8
                                        ; implicit-def: $vgpr3
                                        ; implicit-def: $vgpr6
                                        ; implicit-def: $vgpr4
                                        ; implicit-def: $vgpr1
                                        ; implicit-def: $vgpr5
                                        ; implicit-def: $vgpr16
                                        ; implicit-def: $vgpr12
                                        ; implicit-def: $vgpr17
                                        ; implicit-def: $vgpr15
                                        ; implicit-def: $vgpr11
.LBB0_19:
	s_mov_b32 s9, exec_lo
                                        ; implicit-def: $vgpr11
	v_cmpx_le_u64_e64 s[4:5], v[9:10]
	s_wait_alu 0xfffe
	s_xor_b32 s9, exec_lo, s9
; %bb.20:
	v_add_nc_u32_e32 v11, 16, v18
                                        ; implicit-def: $vgpr0
; %bb.21:
	s_wait_alu 0xfffe
	s_or_saveexec_b32 s9, s9
                                        ; implicit-def: $vgpr7
                                        ; implicit-def: $vgpr2
                                        ; implicit-def: $vgpr8
                                        ; implicit-def: $vgpr3
                                        ; implicit-def: $vgpr6
                                        ; implicit-def: $vgpr4
                                        ; implicit-def: $vgpr1
                                        ; implicit-def: $vgpr5
                                        ; implicit-def: $vgpr16
                                        ; implicit-def: $vgpr12
                                        ; implicit-def: $vgpr17
                                        ; implicit-def: $vgpr15
	s_wait_alu 0xfffe
	s_xor_b32 exec_lo, exec_lo, s9
	s_cbranch_execz .LBB0_25
; %bb.22:
	s_wait_loadcnt 0x1
	v_mad_co_u64_u32 v[1:2], null, s14, v19, 0
	v_mad_co_u64_u32 v[3:4], null, s12, v18, 0
	v_add_nc_u32_e32 v8, 40, v18
	v_add_nc_u32_e32 v20, 0x50, v18
	s_lshl_b64 s[10:11], s[6:7], 2
	s_wait_alu 0xfffe
	s_add_nc_u64 s[10:11], s[0:1], s[10:11]
	s_wait_loadcnt 0x0
	s_delay_alu instid0(VALU_DEP_3) | instskip(SKIP_2) | instid1(VALU_DEP_3)
	v_mad_co_u64_u32 v[5:6], null, s15, v19, v[2:3]
	v_mad_co_u64_u32 v[6:7], null, s12, v8, 0
	v_mad_co_u64_u32 v[14:15], null, s12, v20, 0
	v_mad_co_u64_u32 v[11:12], null, s13, v18, v[4:5]
	s_delay_alu instid0(VALU_DEP_3) | instskip(NEXT) | instid1(VALU_DEP_3)
	v_dual_mov_b32 v2, v5 :: v_dual_mov_b32 v5, v7
	v_mov_b32_e32 v7, v15
	s_delay_alu instid0(VALU_DEP_2) | instskip(SKIP_1) | instid1(VALU_DEP_3)
	v_mad_co_u64_u32 v[12:13], null, s13, v8, v[5:6]
	v_add_nc_u32_e32 v22, 0x78, v18
	v_mad_co_u64_u32 v[20:21], null, s13, v20, v[7:8]
	s_delay_alu instid0(VALU_DEP_3) | instskip(NEXT) | instid1(VALU_DEP_3)
	v_mov_b32_e32 v7, v12
	v_mad_co_u64_u32 v[16:17], null, s12, v22, 0
	s_delay_alu instid0(VALU_DEP_3) | instskip(SKIP_1) | instid1(VALU_DEP_3)
	v_dual_mov_b32 v4, v11 :: v_dual_mov_b32 v15, v20
	v_lshlrev_b64_e32 v[1:2], 2, v[1:2]
	v_mov_b32_e32 v5, v17
	s_delay_alu instid0(VALU_DEP_3) | instskip(SKIP_1) | instid1(VALU_DEP_3)
	v_lshlrev_b64_e32 v[3:4], 2, v[3:4]
	s_wait_alu 0xfffe
	v_add_co_u32 v11, vcc_lo, s10, v1
	s_wait_alu 0xfffd
	v_add_co_ci_u32_e32 v13, vcc_lo, s11, v2, vcc_lo
	s_delay_alu instid0(VALU_DEP_2) | instskip(SKIP_1) | instid1(VALU_DEP_2)
	v_add_co_u32 v1, vcc_lo, v11, v3
	s_wait_alu 0xfffd
	v_add_co_ci_u32_e32 v2, vcc_lo, v13, v4, vcc_lo
	v_lshlrev_b64_e32 v[3:4], 2, v[6:7]
	v_mad_co_u64_u32 v[6:7], null, s12, v0, 0
	v_add_nc_u32_e32 v12, 56, v18
	s_delay_alu instid0(VALU_DEP_3) | instskip(SKIP_1) | instid1(VALU_DEP_4)
	v_add_co_u32 v23, vcc_lo, v11, v3
	s_wait_alu 0xfffd
	v_add_co_ci_u32_e32 v24, vcc_lo, v13, v4, vcc_lo
	s_delay_alu instid0(VALU_DEP_4) | instskip(SKIP_3) | instid1(VALU_DEP_3)
	v_mov_b32_e32 v3, v7
	v_mad_co_u64_u32 v[20:21], null, s13, v22, v[5:6]
	v_mad_co_u64_u32 v[21:22], null, s12, v12, 0
	v_lshlrev_b64_e32 v[4:5], 2, v[14:15]
	v_mov_b32_e32 v17, v20
	v_or_b32_e32 v20, 0x60, v18
	s_delay_alu instid0(VALU_DEP_3) | instskip(SKIP_1) | instid1(VALU_DEP_3)
	v_mad_co_u64_u32 v[7:8], null, s13, v0, v[3:4]
	v_dual_mov_b32 v3, v22 :: v_dual_add_nc_u32 v8, 0x88, v18
	v_mad_co_u64_u32 v[14:15], null, s12, v20, 0
	s_delay_alu instid0(VALU_DEP_2) | instskip(NEXT) | instid1(VALU_DEP_3)
	v_mad_co_u64_u32 v[25:26], null, s13, v12, v[3:4]
	v_mad_co_u64_u32 v[26:27], null, s12, v8, 0
	v_add_co_u32 v4, vcc_lo, v11, v4
	s_delay_alu instid0(VALU_DEP_4)
	v_mov_b32_e32 v3, v15
	v_lshlrev_b64_e32 v[15:16], 2, v[16:17]
	v_mov_b32_e32 v22, v25
	s_wait_alu 0xfffd
	v_add_co_ci_u32_e32 v5, vcc_lo, v13, v5, vcc_lo
	v_mad_co_u64_u32 v[28:29], null, s13, v20, v[3:4]
	v_mov_b32_e32 v3, v27
	v_add_co_u32 v29, vcc_lo, v11, v15
	s_wait_alu 0xfffd
	v_add_co_ci_u32_e32 v30, vcc_lo, v13, v16, vcc_lo
	s_delay_alu instid0(VALU_DEP_3) | instskip(SKIP_3) | instid1(VALU_DEP_3)
	v_mad_co_u64_u32 v[16:17], null, s13, v8, v[3:4]
	v_lshlrev_b64_e32 v[6:7], 2, v[6:7]
	v_mov_b32_e32 v15, v28
	v_lshlrev_b64_e32 v[20:21], 2, v[21:22]
                                        ; implicit-def: $vgpr12
	v_add_co_u32 v31, vcc_lo, v11, v6
	v_mov_b32_e32 v27, v16
	s_wait_alu 0xfffd
	v_add_co_ci_u32_e32 v32, vcc_lo, v13, v7, vcc_lo
	v_lshlrev_b64_e32 v[6:7], 2, v[14:15]
	v_add_co_u32 v14, vcc_lo, v11, v20
	v_lshlrev_b64_e32 v[16:17], 2, v[26:27]
	s_wait_alu 0xfffd
	v_add_co_ci_u32_e32 v15, vcc_lo, v13, v21, vcc_lo
	s_delay_alu instid0(VALU_DEP_4)
	v_add_co_u32 v20, vcc_lo, v11, v6
	s_wait_alu 0xfffd
	v_add_co_ci_u32_e32 v21, vcc_lo, v13, v7, vcc_lo
	v_add_co_u32 v16, vcc_lo, v11, v16
	s_wait_alu 0xfffd
	v_add_co_ci_u32_e32 v17, vcc_lo, v13, v17, vcc_lo
	s_clause 0x7
	global_load_b32 v3, v[1:2], off
	global_load_b32 v2, v[23:24], off
	;; [unrolled: 1-line block ×8, first 2 shown]
                                        ; implicit-def: $vgpr16
                                        ; implicit-def: $vgpr17
                                        ; implicit-def: $vgpr15
	s_and_saveexec_b32 s10, s2
	s_cbranch_execz .LBB0_24
; %bb.23:
	v_or_b32_e32 v24, 32, v18
	v_or_b32_e32 v26, 0x70, v18
	v_add_nc_u32_e32 v27, 0x98, v18
	s_delay_alu instid0(VALU_DEP_3) | instskip(SKIP_1) | instid1(VALU_DEP_4)
	v_mad_co_u64_u32 v[14:15], null, s12, v24, 0
	v_add_nc_u32_e32 v25, 0x48, v18
	v_mad_co_u64_u32 v[20:21], null, s12, v26, 0
	s_delay_alu instid0(VALU_DEP_4) | instskip(NEXT) | instid1(VALU_DEP_4)
	v_mad_co_u64_u32 v[22:23], null, s12, v27, 0
	v_mov_b32_e32 v12, v15
	s_delay_alu instid0(VALU_DEP_4) | instskip(NEXT) | instid1(VALU_DEP_1)
	v_mad_co_u64_u32 v[16:17], null, s12, v25, 0
	v_mov_b32_e32 v15, v17
	v_mov_b32_e32 v17, v21
	;; [unrolled: 1-line block ×3, first 2 shown]
	v_mad_co_u64_u32 v[23:24], null, s13, v24, v[12:13]
	s_delay_alu instid0(VALU_DEP_4) | instskip(NEXT) | instid1(VALU_DEP_4)
	v_mad_co_u64_u32 v[24:25], null, s13, v25, v[15:16]
	v_mad_co_u64_u32 v[25:26], null, s13, v26, v[17:18]
	s_delay_alu instid0(VALU_DEP_4) | instskip(NEXT) | instid1(VALU_DEP_4)
	v_mad_co_u64_u32 v[26:27], null, s13, v27, v[21:22]
	v_mov_b32_e32 v15, v23
	s_delay_alu instid0(VALU_DEP_4) | instskip(NEXT) | instid1(VALU_DEP_4)
	v_mov_b32_e32 v17, v24
	v_mov_b32_e32 v21, v25
	s_delay_alu instid0(VALU_DEP_3) | instskip(SKIP_1) | instid1(VALU_DEP_4)
	v_lshlrev_b64_e32 v[14:15], 2, v[14:15]
	v_mov_b32_e32 v23, v26
	v_lshlrev_b64_e32 v[16:17], 2, v[16:17]
	s_delay_alu instid0(VALU_DEP_4) | instskip(NEXT) | instid1(VALU_DEP_4)
	v_lshlrev_b64_e32 v[20:21], 2, v[20:21]
	v_add_co_u32 v14, vcc_lo, v11, v14
	s_wait_alu 0xfffd
	v_add_co_ci_u32_e32 v15, vcc_lo, v13, v15, vcc_lo
	s_delay_alu instid0(VALU_DEP_4)
	v_add_co_u32 v16, vcc_lo, v11, v16
	v_lshlrev_b64_e32 v[22:23], 2, v[22:23]
	s_wait_alu 0xfffd
	v_add_co_ci_u32_e32 v17, vcc_lo, v13, v17, vcc_lo
	v_add_co_u32 v20, vcc_lo, v11, v20
	s_wait_alu 0xfffd
	v_add_co_ci_u32_e32 v21, vcc_lo, v13, v21, vcc_lo
	v_add_co_u32 v22, vcc_lo, v11, v22
	s_wait_alu 0xfffd
	v_add_co_ci_u32_e32 v23, vcc_lo, v13, v23, vcc_lo
	s_clause 0x3
	global_load_b32 v15, v[14:15], off
	global_load_b32 v12, v[16:17], off
	;; [unrolled: 1-line block ×4, first 2 shown]
.LBB0_24:
	s_wait_alu 0xfffe
	s_or_b32 exec_lo, exec_lo, s10
	v_mov_b32_e32 v11, v0
.LBB0_25:
	s_or_b32 exec_lo, exec_lo, s9
.LBB0_26:
	s_wait_loadcnt 0x1
	v_pk_add_f16 v13, v15, v17 neg_lo:[0,1] neg_hi:[0,1]
	s_wait_loadcnt 0x0
	v_pk_add_f16 v0, v12, v16 neg_lo:[0,1] neg_hi:[0,1]
	v_pk_add_f16 v14, v3, v8 neg_lo:[0,1] neg_hi:[0,1]
	;; [unrolled: 1-line block ×4, first 2 shown]
	v_pk_fma_f16 v7, v15, 2.0, v13 op_sel_hi:[1,0,1] neg_lo:[0,0,1] neg_hi:[0,0,1]
	v_mul_u32_u24_e32 v15, 48, v18
	v_pk_fma_f16 v17, v3, 2.0, v14 op_sel_hi:[1,0,1] neg_lo:[0,0,1] neg_hi:[0,0,1]
	v_pk_fma_f16 v21, v2, 2.0, v16 op_sel_hi:[1,0,1] neg_lo:[0,0,1] neg_hi:[0,0,1]
	;; [unrolled: 1-line block ×3, first 2 shown]
	v_pk_add_f16 v20, v13, v0 op_sel:[0,1] op_sel_hi:[1,0] neg_lo:[0,1] neg_hi:[0,1]
	v_lshl_add_u32 v3, v15, 2, 0
	v_pk_add_f16 v12, v13, v0 op_sel:[0,1] op_sel_hi:[1,0]
	v_pk_add_f16 v15, v17, v21 neg_lo:[0,1] neg_hi:[0,1]
	v_pk_add_f16 v0, v14, v16 op_sel:[0,1] op_sel_hi:[1,0] neg_lo:[0,1] neg_hi:[0,1]
	v_pk_add_f16 v16, v14, v16 op_sel:[0,1] op_sel_hi:[1,0]
	v_lshrrev_b32_e32 v21, 16, v17
	v_pk_add_f16 v24, v5, v1 neg_lo:[0,1] neg_hi:[0,1]
	v_lshrrev_b32_e32 v23, 16, v15
	s_mov_b32 s10, 0
	v_bfi_b32 v16, 0xffff, v0, v16
	s_wait_alu 0xfffe
	v_mad_co_u64_u32 v[0:1], null, 0xc0, v11, s[10:11]
	v_fma_f16 v21, v21, 2.0, -v23
	v_alignbit_b32 v23, s0, v6, 16
	v_alignbit_b32 v1, s0, v24, 16
	v_fma_f16 v17, v17, 2.0, -v15
	v_lshrrev_b32_e32 v25, 16, v24
	v_pk_fma_f16 v5, v5, 2.0, v24 op_sel_hi:[1,0,1] neg_lo:[0,0,1] neg_hi:[0,0,1]
	v_pk_add_f16 v23, v24, v23 neg_lo:[0,1] neg_hi:[0,1]
	v_pk_add_f16 v1, v1, v6
	v_pk_fma_f16 v4, v4, 2.0, v6 op_sel_hi:[1,0,1] neg_lo:[0,0,1] neg_hi:[0,0,1]
	v_lshlrev_b32_e32 v2, 2, v19
	v_lshlrev_b32_e32 v6, 16, v21
	v_and_b32_e32 v17, 0xffff, v17
	v_fma_f16 v21, v24, 2.0, -v23
	v_fma_f16 v24, v25, 2.0, -v1
	v_pk_add_f16 v4, v5, v4 neg_lo:[0,1] neg_hi:[0,1]
	v_add_nc_u32_e32 v22, v3, v2
	v_pk_fma_f16 v14, v14, 2.0, v16 op_sel_hi:[1,0,1] neg_lo:[0,0,1] neg_hi:[0,0,1]
	v_or_b32_e32 v6, v6, v17
	v_pack_b32_f16 v24, v21, v24
	v_lshrrev_b32_e32 v21, 16, v12
	v_add_nc_u32_e32 v17, v0, v2
	v_pk_fma_f16 v5, v5, 2.0, v4 op_sel_hi:[1,0,1] neg_lo:[0,0,1] neg_hi:[0,0,1]
	v_pack_b32_f16 v1, v23, v1
	ds_store_2addr_b32 v22, v6, v14 offset1:12
	ds_store_2addr_b32 v22, v15, v16 offset0:24 offset1:36
	ds_store_2addr_b32 v17, v5, v24 offset1:12
	ds_store_2addr_b32 v17, v4, v1 offset0:24 offset1:36
	s_and_saveexec_b32 s9, s3
	s_wait_alu 0xfffe
	s_xor_b32 s3, exec_lo, s9
; %bb.27:
                                        ; implicit-def: $vgpr12
                                        ; implicit-def: $vgpr13
; %bb.28:
	s_delay_alu instid0(SALU_CYCLE_1)
	s_or_saveexec_b32 s3, s3
	v_pk_add_f16 v22, v7, v8 neg_lo:[0,1] neg_hi:[0,1]
	s_xor_b32 exec_lo, exec_lo, s3
	s_cbranch_execz .LBB0_30
; %bb.29:
	v_bfi_b32 v1, 0xffff, v20, v12
	v_lshl_add_u32 v4, v19, 2, v3
	v_pk_fma_f16 v5, v7, 2.0, v22 op_sel_hi:[1,0,1] neg_lo:[0,0,1] neg_hi:[0,0,1]
	s_delay_alu instid0(VALU_DEP_3) | instskip(NEXT) | instid1(VALU_DEP_3)
	v_pk_fma_f16 v6, v13, 2.0, v1 op_sel_hi:[1,0,1] neg_lo:[0,0,1] neg_hi:[0,0,1]
	v_add_nc_u32_e32 v4, 0x1800, v4
	ds_store_2addr_b32 v4, v5, v6 offset1:12
	ds_store_2addr_b32 v4, v22, v1 offset0:24 offset1:36
.LBB0_30:
	s_or_b32 exec_lo, exec_lo, s3
	v_and_b32_e32 v8, 3, v18
	global_wb scope:SCOPE_SE
	s_wait_dscnt 0x0
	s_barrier_signal -1
	s_barrier_wait -1
	global_inv scope:SCOPE_SE
	v_mul_u32_u24_e32 v1, 9, v8
	v_mul_lo_u32 v16, 0xffffff70, v11
	v_lshrrev_b32_e32 v17, 2, v18
	s_mov_b32 s3, 0
	s_delay_alu instid0(VALU_DEP_3)
	v_lshlrev_b32_e32 v1, 2, v1
	s_clause 0x2
	global_load_b128 v[4:7], v1, s[16:17]
	global_load_b128 v[12:15], v1, s[16:17] offset:16
	global_load_b32 v29, v1, s[16:17] offset:32
	v_mul_i32_i24_e32 v1, 0xffffff70, v18
	v_add3_u32 v0, v0, v16, v2
	s_delay_alu instid0(VALU_DEP_2)
	v_add3_u32 v1, v3, v1, v2
	v_mul_u32_u24_e32 v3, 40, v17
	ds_load_2addr_stride64_b32 v[16:17], v1 offset1:6
	ds_load_2addr_stride64_b32 v[23:24], v1 offset0:15 offset1:18
	ds_load_2addr_stride64_b32 v[25:26], v1 offset0:21 offset1:24
	v_or_b32_e32 v3, v3, v8
	ds_load_2addr_stride64_b32 v[27:28], v1 offset0:9 offset1:12
	ds_load_b32 v8, v0
	ds_load_b32 v30, v1 offset:6912
	v_add_nc_u32_e32 v31, 0x80, v1
	global_wb scope:SCOPE_SE
	s_wait_loadcnt_dscnt 0x0
	s_barrier_signal -1
	v_mul_u32_u24_e32 v3, 48, v3
	s_barrier_wait -1
	global_inv scope:SCOPE_SE
	v_add3_u32 v2, 0, v3, v2
	s_delay_alu instid0(VALU_DEP_1)
	v_add_nc_u32_e32 v3, 0x400, v2
	v_lshrrev_b32_e32 v36, 16, v17
	v_lshrrev_b32_e32 v33, 16, v24
	;; [unrolled: 1-line block ×19, first 2 shown]
	v_mul_f16_e32 v51, v42, v41
	v_mul_f16_e32 v42, v42, v8
	;; [unrolled: 1-line block ×18, first 2 shown]
	v_fma_f16 v8, v4, v8, -v51
	v_fmac_f16_e32 v42, v4, v41
	v_fma_f16 v4, v5, v17, -v52
	v_fmac_f16_e32 v43, v5, v36
	v_fma_f16 v5, v6, v27, -v53
	v_fmac_f16_e32 v44, v6, v37
	v_fma_f16 v6, v7, v28, -v54
	v_fmac_f16_e32 v45, v7, v38
	v_fma_f16 v7, v12, v23, -v55
	v_fmac_f16_e32 v46, v12, v39
	v_fma_f16 v12, v24, v13, -v56
	v_fmac_f16_e32 v47, v33, v13
	v_fma_f16 v13, v25, v14, -v57
	v_fmac_f16_e32 v48, v34, v14
	v_fma_f16 v14, v26, v15, -v58
	v_fmac_f16_e32 v49, v35, v15
	v_fma_f16 v15, v30, v29, -v59
	v_fmac_f16_e32 v50, v40, v29
	v_add_f16_e32 v17, v16, v4
	v_add_f16_e32 v23, v6, v12
	v_sub_f16_e32 v24, v43, v49
	v_sub_f16_e32 v26, v4, v6
	v_sub_f16_e32 v27, v14, v12
	v_add_f16_e32 v28, v4, v14
	v_add_f16_e32 v33, v32, v43
	;; [unrolled: 1-line block ×3, first 2 shown]
	v_sub_f16_e32 v36, v43, v45
	v_add_f16_e32 v38, v43, v49
	v_sub_f16_e32 v39, v45, v43
	v_add_f16_e32 v41, v8, v5
	v_add_f16_e32 v43, v7, v13
	;; [unrolled: 1-line block ×5, first 2 shown]
	v_sub_f16_e32 v29, v6, v4
	v_sub_f16_e32 v30, v12, v14
	;; [unrolled: 1-line block ×7, first 2 shown]
	v_add_f16_e32 v58, v42, v44
	v_sub_f16_e32 v5, v5, v15
	v_sub_f16_e32 v60, v7, v13
	v_add_f16_e32 v6, v17, v6
	v_fma_f16 v17, -0.5, v23, v16
	v_add_f16_e32 v23, v26, v27
	v_fmac_f16_e32 v16, -0.5, v28
	v_add_f16_e32 v27, v33, v45
	v_fma_f16 v28, -0.5, v34, v32
	v_fmac_f16_e32 v32, -0.5, v38
	v_add_f16_e32 v7, v41, v7
	v_fma_f16 v33, -0.5, v43, v8
	v_fma_f16 v38, -0.5, v59, v42
	v_sub_f16_e32 v52, v46, v48
	v_fmac_f16_e32 v8, -0.5, v55
	v_fmac_f16_e32 v42, -0.5, v63
	v_sub_f16_e32 v40, v47, v49
	v_sub_f16_e32 v54, v15, v13
	;; [unrolled: 1-line block ×7, first 2 shown]
	v_add_f16_e32 v26, v29, v30
	v_add_f16_e32 v29, v36, v37
	;; [unrolled: 1-line block ×4, first 2 shown]
	v_fmamk_f16 v13, v51, 0x3b9c, v33
	v_fmamk_f16 v46, v5, 0xbb9c, v38
	v_sub_f16_e32 v25, v45, v47
	v_sub_f16_e32 v4, v4, v14
	v_add_f16_e32 v27, v27, v47
	v_fmamk_f16 v45, v52, 0xbb9c, v8
	v_fmac_f16_e32 v8, 0x3b9c, v52
	v_fmamk_f16 v47, v60, 0x3b9c, v42
	v_fmac_f16_e32 v42, 0xbb9c, v60
	v_fmac_f16_e32 v33, 0xbb9c, v51
	;; [unrolled: 1-line block ×3, first 2 shown]
	v_add_f16_e32 v30, v39, v40
	v_add_f16_e32 v34, v53, v54
	v_add_f16_e32 v39, v61, v62
	v_add_f16_e32 v40, v44, v64
	v_add_f16_e32 v6, v6, v12
	v_fmamk_f16 v44, v35, 0x3b9c, v32
	v_fmac_f16_e32 v32, 0xbb9c, v35
	v_add_f16_e32 v37, v37, v48
	v_fmac_f16_e32 v13, 0x38b4, v52
	v_fmac_f16_e32 v46, 0xb8b4, v60
	v_add_f16_e32 v36, v56, v57
	v_fmamk_f16 v12, v24, 0x3b9c, v17
	v_fmac_f16_e32 v17, 0xbb9c, v24
	v_fmamk_f16 v43, v4, 0xbb9c, v28
	v_fmac_f16_e32 v28, 0x3b9c, v4
	v_fmac_f16_e32 v45, 0x38b4, v51
	;; [unrolled: 1-line block ×5, first 2 shown]
	v_fmamk_f16 v41, v25, 0xbb9c, v16
	v_fmac_f16_e32 v16, 0x3b9c, v25
	v_fmac_f16_e32 v33, 0xb8b4, v52
	;; [unrolled: 1-line block ×3, first 2 shown]
	v_add_f16_e32 v6, v6, v14
	v_add_f16_e32 v14, v27, v49
	v_fmac_f16_e32 v44, 0xb8b4, v4
	v_fmac_f16_e32 v32, 0x38b4, v4
	v_add_f16_e32 v4, v7, v15
	v_add_f16_e32 v7, v37, v50
	v_fmac_f16_e32 v13, 0x34f2, v34
	v_fmac_f16_e32 v46, 0x34f2, v39
	v_fmac_f16_e32 v12, 0x38b4, v25
	v_fmac_f16_e32 v17, 0xb8b4, v25
	v_fmac_f16_e32 v43, 0xb8b4, v35
	v_fmac_f16_e32 v28, 0x38b4, v35
	v_fmac_f16_e32 v45, 0x34f2, v36
	v_fmac_f16_e32 v8, 0x34f2, v36
	v_fmac_f16_e32 v47, 0x34f2, v40
	v_fmac_f16_e32 v42, 0x34f2, v40
	v_fmac_f16_e32 v41, 0x38b4, v24
	v_fmac_f16_e32 v16, 0xb8b4, v24
	v_fmac_f16_e32 v33, 0x34f2, v34
	v_fmac_f16_e32 v38, 0x34f2, v39
	v_add_f16_e32 v5, v6, v4
	v_add_f16_e32 v15, v14, v7
	v_sub_f16_e32 v4, v6, v4
	v_sub_f16_e32 v6, v14, v7
	v_mul_f16_e32 v7, 0x38b4, v46
	v_mul_f16_e32 v27, 0xb8b4, v13
	v_fmac_f16_e32 v12, 0x34f2, v23
	v_fmac_f16_e32 v17, 0x34f2, v23
	;; [unrolled: 1-line block ×4, first 2 shown]
	v_mul_f16_e32 v14, 0x3b9c, v47
	v_mul_f16_e32 v23, 0x34f2, v8
	;; [unrolled: 1-line block ×4, first 2 shown]
	v_fmac_f16_e32 v41, 0x34f2, v26
	v_fmac_f16_e32 v16, 0x34f2, v26
	v_mul_f16_e32 v24, 0x3a79, v33
	v_mul_f16_e32 v26, 0x3a79, v38
	v_fmac_f16_e32 v7, 0x3a79, v13
	v_fmac_f16_e32 v27, 0x3a79, v46
	;; [unrolled: 1-line block ×4, first 2 shown]
	v_pack_b32_f16 v4, v4, v6
	v_fmac_f16_e32 v14, 0x34f2, v45
	v_fma_f16 v6, v42, 0x3b9c, -v23
	v_fmac_f16_e32 v29, 0x34f2, v47
	v_fma_f16 v8, v8, 0xbb9c, -v25
	v_pack_b32_f16 v5, v5, v15
	v_fma_f16 v13, v38, 0x38b4, -v24
	v_fma_f16 v15, v33, 0xb8b4, -v26
	v_add_f16_e32 v23, v12, v7
	v_add_f16_e32 v35, v43, v27
	;; [unrolled: 1-line block ×8, first 2 shown]
	v_sub_f16_e32 v7, v12, v7
	v_sub_f16_e32 v12, v41, v14
	;; [unrolled: 1-line block ×8, first 2 shown]
	v_pack_b32_f16 v8, v23, v35
	v_pack_b32_f16 v14, v30, v36
	;; [unrolled: 1-line block ×8, first 2 shown]
	ds_store_2addr_b32 v2, v5, v8 offset1:48
	ds_store_2addr_b32 v2, v14, v15 offset0:96 offset1:144
	ds_store_2addr_b32 v2, v16, v4 offset0:192 offset1:240
	;; [unrolled: 1-line block ×4, first 2 shown]
	global_wb scope:SCOPE_SE
	s_wait_dscnt 0x0
	s_barrier_signal -1
	s_barrier_wait -1
	global_inv scope:SCOPE_SE
	ds_load_2addr_stride64_b32 v[16:17], v31 offset0:7 offset1:10
	ds_load_2addr_stride64_b32 v[14:15], v1 offset0:15 offset1:18
	;; [unrolled: 1-line block ×3, first 2 shown]
	ds_load_b32 v39, v1
	ds_load_b32 v31, v0
	s_and_saveexec_b32 s9, s2
	s_cbranch_execz .LBB0_32
; %bb.31:
	v_add_nc_u32_e32 v0, 0x600, v1
	ds_load_b32 v25, v0
	ds_load_b32 v20, v1 offset:7296
	ds_load_b32 v26, v1 offset:3456
	;; [unrolled: 1-line block ×3, first 2 shown]
	s_wait_dscnt 0x3
	v_lshrrev_b32_e32 v24, 16, v25
	s_wait_dscnt 0x2
	v_lshrrev_b32_e32 v21, 16, v20
	;; [unrolled: 2-line block ×3, first 2 shown]
.LBB0_32:
	s_wait_alu 0xfffe
	s_or_b32 exec_lo, exec_lo, s9
	v_mul_hi_u32 v1, 0xcccccccd, v11
	v_mul_u32_u24_e32 v0, 3, v18
	v_or_b32_e32 v23, 32, v18
	v_mul_lo_u32 v30, v9, 40
	s_add_co_i32 s9, 0, 0x1e00
	s_wait_dscnt 0x2
	v_lshrrev_b32_e32 v48, 16, v12
	v_lshlrev_b32_e32 v0, 2, v0
	v_lshrrev_b32_e32 v49, 16, v14
	v_lshrrev_b32_e32 v28, 5, v1
	v_mov_b32_e32 v1, 0
	v_lshrrev_b32_e32 v50, 16, v16
	global_load_b96 v[6:8], v0, s[16:17] offset:144
	s_wait_dscnt 0x1
	v_lshrrev_b32_e32 v47, 16, v39
	v_mul_lo_u32 v0, v28, 40
	v_lshrrev_b32_e32 v44, 16, v13
	v_lshrrev_b32_e32 v45, 16, v15
	;; [unrolled: 1-line block ×3, first 2 shown]
	s_wait_dscnt 0x0
	v_lshrrev_b32_e32 v43, 16, v31
	v_sub_nc_u32_e32 v29, v11, v0
	s_delay_alu instid0(VALU_DEP_1) | instskip(SKIP_1) | instid1(VALU_DEP_2)
	v_lshl_add_u32 v0, v29, 1, v29
	v_mul_lo_u32 v29, v29, v9
	v_lshlrev_b64_e32 v[0:1], 2, v[0:1]
	s_delay_alu instid0(VALU_DEP_1) | instskip(SKIP_1) | instid1(VALU_DEP_2)
	v_add_co_u32 v0, vcc_lo, s16, v0
	s_wait_alu 0xfffd
	v_add_co_ci_u32_e32 v1, vcc_lo, s17, v1, vcc_lo
	s_and_not1_b32 vcc_lo, exec_lo, s8
	global_load_b96 v[3:5], v[0:1], off offset:144
	v_mul_hi_u32 v0, 0x6666667, v23
	v_mul_lo_u32 v1, v18, v9
	s_delay_alu instid0(VALU_DEP_2) | instskip(NEXT) | instid1(VALU_DEP_2)
	v_mul_u32_u24_e32 v0, 40, v0
	v_lshrrev_b32_e32 v2, 3, v1
	v_lshrrev_b32_e32 v34, 8, v1
	v_add_nc_u32_e32 v35, v1, v30
	s_delay_alu instid0(VALU_DEP_4) | instskip(SKIP_2) | instid1(VALU_DEP_4)
	v_sub_nc_u32_e32 v32, v23, v0
	v_and_b32_e32 v0, 31, v1
	v_and_b32_e32 v37, 0x7c, v2
	v_lshrrev_b32_e32 v38, 3, v35
	v_lshrrev_b32_e32 v40, 8, v35
	v_mul_u32_u24_e32 v33, 3, v32
	v_lshl_add_u32 v36, v0, 2, 0
	s_wait_alu 0xfffe
	v_add_nc_u32_e32 v37, s9, v37
	v_and_b32_e32 v38, 0x7c, v38
	v_and_b32_e32 v40, 0x7c, v40
	v_lshlrev_b32_e32 v0, 2, v33
	v_and_b32_e32 v33, 0x7c, v34
	v_and_b32_e32 v34, 31, v35
	v_add_nc_u32_e32 v35, v35, v30
	v_mul_lo_u32 v32, v32, v9
	global_load_b96 v[0:2], v0, s[16:17] offset:144
	v_add_nc_u32_e32 v33, s9, v33
	v_lshl_add_u32 v34, v34, 2, 0
	v_lshrrev_b32_e32 v42, 3, v35
	v_and_b32_e32 v41, 31, v35
	v_lshrrev_b32_e32 v51, 8, v35
	v_add_nc_u32_e32 v35, v35, v30
	v_add_nc_u32_e32 v38, s9, v38
	v_and_b32_e32 v42, 0x7c, v42
	v_add_nc_u32_e32 v40, s9, v40
	v_lshl_add_u32 v41, v41, 2, 0
	v_lshrrev_b32_e32 v53, 3, v35
	v_and_b32_e32 v52, 31, v35
	v_add_nc_u32_e32 v42, s9, v42
	ds_load_b32 v36, v36 offset:7680
	ds_load_b32 v37, v37 offset:128
	;; [unrolled: 1-line block ×8, first 2 shown]
	v_lshrrev_b32_e32 v35, 8, v35
	v_and_b32_e32 v53, 0x7c, v53
	v_and_b32_e32 v54, 31, v32
	v_lshrrev_b32_e32 v55, 3, v32
	v_lshrrev_b32_e32 v56, 8, v32
	v_add_nc_u32_e32 v32, v32, v30
	v_and_b32_e32 v38, 31, v29
	v_lshrrev_b32_e32 v40, 3, v29
	v_lshrrev_b32_e32 v41, 8, v29
	v_add_nc_u32_e32 v29, v29, v30
	v_and_b32_e32 v51, 0x7c, v51
	v_and_b32_e32 v35, 0x7c, v35
	v_add_nc_u32_e32 v33, s9, v53
	v_lshl_add_u32 v42, v54, 2, 0
	v_and_b32_e32 v53, 0x7c, v55
	v_and_b32_e32 v54, 0x7c, v56
	;; [unrolled: 1-line block ×3, first 2 shown]
	v_lshrrev_b32_e32 v56, 3, v32
	v_lshrrev_b32_e32 v62, 8, v32
	v_add_nc_u32_e32 v32, v32, v30
	v_and_b32_e32 v64, 31, v29
	v_add_nc_u32_e32 v51, s9, v51
	v_and_b32_e32 v40, 0x7c, v40
	v_and_b32_e32 v41, 0x7c, v41
	v_lshl_add_u32 v52, v52, 2, 0
	v_lshrrev_b32_e32 v65, 3, v29
	v_lshrrev_b32_e32 v66, 8, v29
	v_add_nc_u32_e32 v29, v29, v30
	s_wait_dscnt 0x7
	v_lshrrev_b32_e32 v63, 16, v36
	s_wait_dscnt 0x6
	v_lshrrev_b32_e32 v70, 16, v37
	v_add_nc_u32_e32 v35, s9, v35
	v_lshl_add_u32 v38, v38, 2, 0
	v_and_b32_e32 v67, 31, v32
	v_lshrrev_b32_e32 v68, 3, v32
	v_lshrrev_b32_e32 v69, 8, v32
	v_add_nc_u32_e32 v32, v32, v30
	v_lshl_add_u32 v64, v64, 2, 0
	v_and_b32_e32 v56, 0x7c, v56
	v_and_b32_e32 v62, 0x7c, v62
	v_add_nc_u32_e32 v40, s9, v40
	v_add_nc_u32_e32 v41, s9, v41
	ds_load_b32 v51, v51 offset:256
	ds_load_b32 v52, v52 offset:7680
	;; [unrolled: 1-line block ×8, first 2 shown]
	v_and_b32_e32 v73, 31, v29
	v_lshrrev_b32_e32 v74, 3, v29
	v_lshrrev_b32_e32 v75, 8, v29
	v_add_nc_u32_e32 v29, v29, v30
	v_mul_f16_e32 v77, v63, v70
	v_lshrrev_b32_e32 v76, 3, v32
	s_wait_dscnt 0xc
	v_lshrrev_b32_e32 v72, 16, v34
	v_add_nc_u32_e32 v30, s9, v56
	v_add_nc_u32_e32 v56, s9, v62
	v_lshl_add_u32 v62, v67, 2, 0
	v_and_b32_e32 v67, 0x7c, v68
	v_and_b32_e32 v68, 0x7c, v69
	;; [unrolled: 1-line block ×3, first 2 shown]
	v_lshrrev_b32_e32 v32, 8, v32
	v_mul_f16_e32 v70, v36, v70
	s_wait_dscnt 0xb
	v_lshrrev_b32_e32 v78, 16, v58
	v_and_b32_e32 v38, 31, v29
	v_lshrrev_b32_e32 v40, 3, v29
	v_lshrrev_b32_e32 v29, 8, v29
	;; [unrolled: 1-line block ×3, first 2 shown]
	v_and_b32_e32 v65, 0x7c, v65
	v_and_b32_e32 v33, 0x7c, v74
	;; [unrolled: 1-line block ×3, first 2 shown]
	v_fma_f16 v75, v36, v37, -v77
	v_add_nc_u32_e32 v53, s9, v53
	v_and_b32_e32 v66, 0x7c, v66
	v_add_nc_u32_e32 v54, s9, v54
	v_and_b32_e32 v74, 0x7c, v76
	v_lshl_add_u32 v55, v55, 2, 0
	s_wait_dscnt 0x9
	v_lshrrev_b32_e32 v80, 16, v60
	v_and_b32_e32 v32, 0x7c, v32
	v_fmac_f16_e32 v70, v63, v37
	v_mul_f16_e32 v63, v72, v78
	v_mul_f16_e32 v76, v34, v78
	s_wait_dscnt 0x8
	v_lshrrev_b32_e32 v77, 16, v61
	v_and_b32_e32 v90, 0x7c, v40
	v_and_b32_e32 v29, 0x7c, v29
	v_add_nc_u32_e32 v65, s9, v65
	v_add_nc_u32_e32 v67, s9, v67
	;; [unrolled: 1-line block ×5, first 2 shown]
	v_lshl_add_u32 v89, v38, 2, 0
	ds_load_b32 v42, v42 offset:7680
	ds_load_b32 v41, v53 offset:128
	ds_load_b32 v40, v54 offset:256
	ds_load_b32 v37, v55 offset:7680
	ds_load_b32 v38, v30 offset:128
	ds_load_b32 v33, v56 offset:256
	ds_load_b32 v36, v62 offset:7680
	ds_load_b32 v35, v67 offset:128
	v_mul_f16_e32 v55, v75, v71
	v_add_nc_u32_e32 v66, s9, v66
	v_lshl_add_u32 v69, v69, 2, 0
	v_lshl_add_u32 v73, v73, 2, 0
	v_add_nc_u32_e32 v30, s9, v74
	v_lshrrev_b32_e32 v79, 16, v59
	s_wait_dscnt 0xe
	v_lshrrev_b32_e32 v86, 16, v52
	v_add_nc_u32_e32 v53, s9, v32
	v_mul_f16_e32 v54, v70, v71
	v_fma_f16 v56, v34, v58, -v63
	v_fmac_f16_e32 v76, v72, v58
	v_mul_f16_e32 v58, v80, v77
	v_mul_f16_e32 v62, v60, v77
	s_wait_dscnt 0xd
	v_lshrrev_b32_e32 v63, 16, v81
	v_add_nc_u32_e32 v71, s9, v90
	v_add_nc_u32_e32 v72, s9, v29
	ds_load_b32 v34, v68 offset:256
	ds_load_b32 v32, v69 offset:7680
	;; [unrolled: 1-line block ×4, first 2 shown]
	v_fmac_f16_e32 v55, v57, v70
	ds_load_b32 v65, v65 offset:128
	ds_load_b32 v66, v66 offset:256
	ds_load_b32 v68, v73 offset:7680
	ds_load_b32 v69, v87 offset:128
	ds_load_b32 v70, v88 offset:256
	ds_load_b32 v73, v89 offset:7680
	ds_load_b32 v71, v71 offset:128
	ds_load_b32 v72, v72 offset:256
	v_lshrrev_b32_e32 v78, 16, v51
	v_fma_f16 v53, v57, v75, -v54
	v_mul_f16_e32 v54, v76, v79
	v_mul_f16_e32 v57, v56, v79
	v_fma_f16 v58, v60, v61, -v58
	v_fmac_f16_e32 v62, v80, v61
	v_mul_f16_e32 v60, v86, v63
	v_mul_f16_e32 v61, v52, v63
	s_wait_dscnt 0x18
	v_lshrrev_b32_e32 v67, 16, v82
	s_wait_dscnt 0x17
	v_lshrrev_b32_e32 v63, 16, v83
	v_fma_f16 v54, v59, v56, -v54
	v_fmac_f16_e32 v57, v59, v76
	v_mul_f16_e32 v56, v62, v78
	v_mul_f16_e32 v59, v58, v78
	v_fma_f16 v52, v52, v81, -v60
	v_fmac_f16_e32 v61, v86, v81
	s_wait_dscnt 0x16
	v_lshrrev_b32_e32 v60, 16, v84
	s_wait_dscnt 0x14
	v_lshrrev_b32_e32 v75, 16, v64
	v_fma_f16 v56, v51, v58, -v56
	v_fmac_f16_e32 v59, v51, v62
	v_mul_f16_e32 v51, v61, v67
	v_mul_f16_e32 v58, v52, v67
	;; [unrolled: 1-line block ×4, first 2 shown]
	s_wait_dscnt 0x7
	v_lshrrev_b32_e32 v67, 16, v65
	v_lshrrev_b32_e32 v74, 16, v85
	s_wait_dscnt 0x5
	v_lshrrev_b32_e32 v77, 16, v68
	v_fma_f16 v51, v82, v52, -v51
	v_fmac_f16_e32 v58, v82, v61
	v_fma_f16 v52, v83, v84, -v62
	v_fmac_f16_e32 v60, v63, v84
	v_mul_f16_e32 v61, v75, v67
	v_mul_f16_e32 v62, v64, v67
	s_wait_dscnt 0x4
	v_lshrrev_b32_e32 v63, 16, v69
	v_lshrrev_b32_e32 v76, 16, v66
	v_mul_f16_e32 v79, v60, v74
	v_mul_f16_e32 v74, v52, v74
	v_fma_f16 v61, v64, v65, -v61
	v_fmac_f16_e32 v62, v75, v65
	v_mul_f16_e32 v64, v77, v63
	v_mul_f16_e32 v63, v68, v63
	s_wait_dscnt 0x3
	v_lshrrev_b32_e32 v67, 16, v70
	s_wait_dscnt 0x2
	v_lshrrev_b32_e32 v78, 16, v73
	;; [unrolled: 2-line block ×3, first 2 shown]
	v_fmac_f16_e32 v74, v85, v60
	v_mul_f16_e32 v60, v62, v76
	v_mul_f16_e32 v76, v61, v76
	v_fmac_f16_e32 v63, v77, v69
	v_fma_f16 v64, v68, v69, -v64
	v_mul_f16_e32 v68, v78, v65
	v_fma_f16 v60, v66, v61, -v60
	v_fmac_f16_e32 v76, v66, v62
	v_mul_f16_e32 v61, v63, v67
	v_mul_f16_e32 v62, v64, v67
	;; [unrolled: 1-line block ×3, first 2 shown]
	v_fma_f16 v66, v73, v71, -v68
	s_wait_dscnt 0x0
	v_lshrrev_b32_e32 v75, 16, v72
	v_fma_f16 v61, v70, v64, -v61
	v_fmac_f16_e32 v62, v70, v63
	v_fmac_f16_e32 v65, v78, v71
	v_fma_f16 v52, v85, v52, -v79
	s_delay_alu instid0(VALU_DEP_2) | instskip(SKIP_4) | instid1(VALU_DEP_3)
	v_mul_f16_e32 v67, v65, v75
	s_wait_loadcnt 0x2
	v_lshrrev_b32_e32 v64, 16, v6
	v_lshrrev_b32_e32 v63, 16, v7
	;; [unrolled: 1-line block ×3, first 2 shown]
	v_mul_f16_e32 v69, v64, v50
	v_mul_f16_e32 v64, v64, v16
	s_delay_alu instid0(VALU_DEP_4)
	v_mul_f16_e32 v70, v63, v49
	v_mul_f16_e32 v63, v63, v14
	;; [unrolled: 1-line block ×4, first 2 shown]
	v_fma_f16 v16, v6, v16, -v69
	v_fmac_f16_e32 v64, v6, v50
	v_fma_f16 v6, v7, v14, -v70
	v_fmac_f16_e32 v63, v7, v49
	;; [unrolled: 2-line block ×3, first 2 shown]
	v_mul_f16_e32 v8, v66, v75
	v_sub_f16_e32 v6, v39, v6
	v_sub_f16_e32 v12, v47, v63
	;; [unrolled: 1-line block ×4, first 2 shown]
	v_fma_f16 v63, v72, v66, -v67
	v_fma_f16 v39, v39, 2.0, -v6
	v_fma_f16 v47, v47, 2.0, -v12
	;; [unrolled: 1-line block ×4, first 2 shown]
	v_sub_f16_e32 v14, v6, v14
	v_add_f16_e32 v49, v12, v7
	v_fmac_f16_e32 v8, v72, v65
	v_sub_f16_e32 v16, v39, v16
	v_sub_f16_e32 v64, v47, v48
	v_fma_f16 v48, v6, 2.0, -v14
	v_fma_f16 v12, v12, 2.0, -v49
	v_mul_f16_e32 v7, v49, v58
	v_mul_f16_e32 v6, v14, v58
	v_fma_f16 v58, v39, 2.0, -v16
	v_fma_f16 v65, v47, 2.0, -v64
	v_mul_f16_e32 v66, v12, v57
	v_mul_f16_e32 v47, v48, v57
	v_mul_f16_e32 v57, v64, v59
	v_mul_f16_e32 v39, v16, v59
	v_fma_f16 v7, v14, v51, -v7
	v_fmac_f16_e32 v6, v49, v51
	s_wait_loadcnt 0x1
	v_lshrrev_b32_e32 v14, 16, v3
	v_lshrrev_b32_e32 v51, 16, v4
	;; [unrolled: 1-line block ×3, first 2 shown]
	v_mul_f16_e32 v67, v65, v55
	v_mul_f16_e32 v50, v58, v55
	v_fma_f16 v49, v48, v54, -v66
	v_fmac_f16_e32 v47, v12, v54
	v_fma_f16 v48, v16, v56, -v57
	v_mul_f16_e32 v12, v14, v46
	v_mul_f16_e32 v14, v14, v17
	;; [unrolled: 1-line block ×6, first 2 shown]
	v_fma_f16 v12, v3, v17, -v12
	v_fmac_f16_e32 v14, v3, v46
	v_fma_f16 v3, v4, v15, -v16
	v_fmac_f16_e32 v51, v4, v45
	;; [unrolled: 2-line block ×3, first 2 shown]
	v_fma_f16 v44, v58, v53, -v67
	v_sub_f16_e32 v3, v31, v3
	v_sub_f16_e32 v5, v43, v51
	;; [unrolled: 1-line block ×4, first 2 shown]
	v_fmac_f16_e32 v50, v65, v53
	v_fma_f16 v15, v31, 2.0, -v3
	v_fma_f16 v16, v43, 2.0, -v5
	;; [unrolled: 1-line block ×4, first 2 shown]
	v_sub_f16_e32 v13, v3, v13
	v_add_f16_e32 v4, v5, v4
	v_fmac_f16_e32 v39, v64, v56
	v_sub_f16_e32 v17, v15, v12
	v_sub_f16_e32 v31, v16, v14
	v_fma_f16 v3, v3, 2.0, -v13
	v_fma_f16 v43, v5, 2.0, -v4
	v_mul_f16_e32 v45, v4, v8
	v_fma_f16 v46, v15, 2.0, -v17
	v_fma_f16 v51, v16, 2.0, -v31
	v_mul_f16_e32 v5, v13, v8
	v_mul_f16_e32 v15, v43, v76
	;; [unrolled: 1-line block ×5, first 2 shown]
	v_fma_f16 v8, v13, v63, -v45
	v_mul_f16_e32 v45, v51, v74
	v_mul_f16_e32 v16, v46, v74
	v_fma_f16 v15, v3, v60, -v15
	v_fmac_f16_e32 v14, v43, v60
	v_fma_f16 v13, v17, v61, -v53
	v_fmac_f16_e32 v12, v31, v61
	;; [unrolled: 2-line block ×3, first 2 shown]
	v_fmac_f16_e32 v5, v4, v63
	s_cbranch_vccnz .LBB0_34
; %bb.33:
	v_mad_co_u64_u32 v[3:4], null, s14, v19, 0
	v_mad_co_u64_u32 v[45:46], null, s12, v18, 0
	v_add_nc_u32_e32 v60, 0x50, v18
	s_lshl_b64 s[8:9], s[6:7], 2
	v_perm_b32 v64, v39, v48, 0x5040100
	s_wait_alu 0xfffe
	s_add_nc_u64 s[8:9], s[0:1], s[8:9]
	s_delay_alu instid0(VALU_DEP_4) | instskip(NEXT) | instid1(VALU_DEP_4)
	v_mad_co_u64_u32 v[51:52], null, s15, v19, v[4:5]
	v_mov_b32_e32 v31, v46
	v_add_nc_u32_e32 v59, 40, v18
	v_mad_co_u64_u32 v[54:55], null, s12, v60, 0
	v_perm_b32 v66, v6, v7, 0x5040100
	s_delay_alu instid0(VALU_DEP_4) | instskip(SKIP_4) | instid1(VALU_DEP_4)
	v_mad_co_u64_u32 v[56:57], null, s13, v18, v[31:32]
	v_mov_b32_e32 v4, v51
	v_mad_co_u64_u32 v[52:53], null, s12, v59, 0
	v_add_nc_u32_e32 v61, 0x78, v18
	v_mov_b32_e32 v43, v55
	v_lshlrev_b64_e32 v[3:4], 2, v[3:4]
	v_mov_b32_e32 v46, v56
	s_and_b32 s3, s2, exec_lo
	v_mad_co_u64_u32 v[57:58], null, s12, v61, 0
	v_mov_b32_e32 v31, v53
	s_delay_alu instid0(VALU_DEP_3)
	v_lshlrev_b64_e32 v[45:46], 2, v[45:46]
	s_wait_alu 0xfffe
	v_add_co_u32 v3, vcc_lo, s8, v3
	s_wait_alu 0xfffd
	v_add_co_ci_u32_e32 v4, vcc_lo, s9, v4, vcc_lo
	v_mad_co_u64_u32 v[55:56], null, s13, v59, v[31:32]
	v_mad_co_u64_u32 v[59:60], null, s13, v60, v[43:44]
	v_mov_b32_e32 v31, v58
	v_add_co_u32 v45, vcc_lo, v3, v45
	s_wait_alu 0xfffd
	v_add_co_ci_u32_e32 v46, vcc_lo, v4, v46, vcc_lo
	v_mov_b32_e32 v53, v55
	v_mov_b32_e32 v55, v59
	v_mad_co_u64_u32 v[58:59], null, s13, v61, v[31:32]
	v_mad_co_u64_u32 v[59:60], null, 0x78, v28, v[11:12]
	v_perm_b32 v43, v50, v44, 0x5040100
	v_lshlrev_b64_e32 v[51:52], 2, v[52:53]
	v_perm_b32 v31, v47, v49, 0x5040100
	global_store_b32 v[45:46], v43, off
	v_lshlrev_b64_e32 v[45:46], 2, v[54:55]
	v_mad_co_u64_u32 v[53:54], null, s12, v59, 0
	v_add_co_u32 v51, vcc_lo, v3, v51
	s_wait_alu 0xfffd
	v_add_co_ci_u32_e32 v52, vcc_lo, v4, v52, vcc_lo
	v_add_nc_u32_e32 v61, 40, v59
	v_add_nc_u32_e32 v63, 0x50, v59
	;; [unrolled: 1-line block ×3, first 2 shown]
	global_store_b32 v[51:52], v31, off
	v_mov_b32_e32 v31, v54
	v_lshlrev_b64_e32 v[51:52], 2, v[57:58]
	v_mad_co_u64_u32 v[57:58], null, s12, v63, 0
	v_add_co_u32 v45, vcc_lo, v3, v45
	s_delay_alu instid0(VALU_DEP_4)
	v_mad_co_u64_u32 v[54:55], null, s13, v59, v[31:32]
	v_mad_co_u64_u32 v[55:56], null, s12, v61, 0
	;; [unrolled: 1-line block ×3, first 2 shown]
	v_mov_b32_e32 v43, v58
	s_wait_alu 0xfffd
	v_add_co_ci_u32_e32 v46, vcc_lo, v4, v46, vcc_lo
	v_lshlrev_b64_e32 v[53:54], 2, v[53:54]
	v_mov_b32_e32 v31, v56
	v_add_co_u32 v51, vcc_lo, v3, v51
	s_wait_alu 0xfffd
	v_add_co_ci_u32_e32 v52, vcc_lo, v4, v52, vcc_lo
	s_delay_alu instid0(VALU_DEP_3)
	v_mad_co_u64_u32 v[61:62], null, s13, v61, v[31:32]
	v_mad_co_u64_u32 v[62:63], null, s13, v63, v[43:44]
	v_mov_b32_e32 v31, v60
	v_add_co_u32 v53, vcc_lo, v3, v53
	s_wait_alu 0xfffd
	v_add_co_ci_u32_e32 v54, vcc_lo, v4, v54, vcc_lo
	v_mov_b32_e32 v56, v61
	v_mad_co_u64_u32 v[60:61], null, s13, v65, v[31:32]
	v_mov_b32_e32 v58, v62
	v_perm_b32 v31, v16, v17, 0x5040100
	global_store_b32 v[45:46], v64, off
	v_lshlrev_b64_e32 v[45:46], 2, v[55:56]
	s_clause 0x1
	global_store_b32 v[51:52], v66, off
	global_store_b32 v[53:54], v31, off
	v_lshlrev_b64_e32 v[51:52], 2, v[57:58]
	v_lshlrev_b64_e32 v[53:54], 2, v[59:60]
	v_perm_b32 v31, v14, v15, 0x5040100
	v_add_co_u32 v45, vcc_lo, v3, v45
	s_wait_alu 0xfffd
	v_add_co_ci_u32_e32 v46, vcc_lo, v4, v46, vcc_lo
	v_add_co_u32 v51, vcc_lo, v3, v51
	s_wait_alu 0xfffd
	v_add_co_ci_u32_e32 v52, vcc_lo, v4, v52, vcc_lo
	;; [unrolled: 3-line block ×3, first 2 shown]
	v_perm_b32 v55, v5, v8, 0x5040100
	v_perm_b32 v43, v12, v13, 0x5040100
	s_clause 0x2
	global_store_b32 v[45:46], v31, off
	global_store_b32 v[51:52], v43, off
	;; [unrolled: 1-line block ×3, first 2 shown]
	s_cbranch_execz .LBB0_35
	s_branch .LBB0_38
.LBB0_34:
                                        ; implicit-def: $vgpr3_vgpr4
.LBB0_35:
	v_cmp_gt_u64_e32 vcc_lo, s[4:5], v[9:10]
                                        ; implicit-def: $vgpr3_vgpr4
	s_and_saveexec_b32 s4, vcc_lo
	s_cbranch_execz .LBB0_37
; %bb.36:
	v_mad_co_u64_u32 v[3:4], null, s14, v19, 0
	v_mad_co_u64_u32 v[9:10], null, s12, v18, 0
	s_lshl_b64 s[6:7], s[6:7], 2
	s_wait_alu 0xfffe
	s_add_nc_u64 s[0:1], s[0:1], s[6:7]
	s_delay_alu instid0(VALU_DEP_2) | instskip(SKIP_1) | instid1(VALU_DEP_3)
	v_mad_co_u64_u32 v[51:52], null, s15, v19, v[4:5]
	v_add_nc_u32_e32 v43, 40, v18
	v_mad_co_u64_u32 v[54:55], null, s13, v18, v[10:11]
	v_add_nc_u32_e32 v57, 0x78, v18
	v_perm_b32 v5, v5, v8, 0x5040100
	v_mov_b32_e32 v4, v51
	v_mad_co_u64_u32 v[45:46], null, s12, v43, 0
	v_mov_b32_e32 v10, v54
	v_add_nc_u32_e32 v56, 0x50, v18
	s_delay_alu instid0(VALU_DEP_4) | instskip(NEXT) | instid1(VALU_DEP_3)
	v_lshlrev_b64_e32 v[3:4], 2, v[3:4]
	v_lshlrev_b64_e32 v[9:10], 2, v[9:10]
	v_mov_b32_e32 v19, v46
	s_delay_alu instid0(VALU_DEP_4) | instskip(SKIP_1) | instid1(VALU_DEP_4)
	v_mad_co_u64_u32 v[52:53], null, s12, v56, 0
	s_wait_alu 0xfffe
	v_add_co_u32 v3, vcc_lo, s0, v3
	s_wait_alu 0xfffd
	v_add_co_ci_u32_e32 v4, vcc_lo, s1, v4, vcc_lo
	s_and_not1_b32 s0, s3, exec_lo
	s_delay_alu instid0(VALU_DEP_2) | instskip(NEXT) | instid1(VALU_DEP_4)
	v_add_co_u32 v9, vcc_lo, v3, v9
	v_mov_b32_e32 v31, v53
	v_mad_co_u64_u32 v[53:54], null, s13, v43, v[19:20]
	v_perm_b32 v19, v50, v44, 0x5040100
	v_mad_co_u64_u32 v[50:51], null, 0x78, v28, v[11:12]
	s_wait_alu 0xfffd
	v_add_co_ci_u32_e32 v10, vcc_lo, v4, v10, vcc_lo
	v_perm_b32 v28, v47, v49, 0x5040100
	v_mov_b32_e32 v46, v53
	v_mad_co_u64_u32 v[54:55], null, s13, v56, v[31:32]
	v_perm_b32 v31, v39, v48, 0x5040100
	v_add_nc_u32_e32 v39, 40, v50
	s_delay_alu instid0(VALU_DEP_4)
	v_lshlrev_b64_e32 v[43:44], 2, v[45:46]
	v_mad_co_u64_u32 v[45:46], null, s12, v57, 0
	s_and_b32 s1, s2, exec_lo
	v_mov_b32_e32 v53, v54
	s_wait_alu 0xfffe
	s_or_b32 s3, s0, s1
	v_add_co_u32 v43, vcc_lo, v3, v43
	s_wait_alu 0xfffd
	v_add_co_ci_u32_e32 v44, vcc_lo, v4, v44, vcc_lo
	v_lshlrev_b64_e32 v[51:52], 2, v[52:53]
	v_mad_co_u64_u32 v[53:54], null, s12, v50, 0
	v_mov_b32_e32 v11, v46
	s_delay_alu instid0(VALU_DEP_3) | instskip(SKIP_1) | instid1(VALU_DEP_4)
	v_add_co_u32 v51, vcc_lo, v3, v51
	s_wait_alu 0xfffd
	v_add_co_ci_u32_e32 v52, vcc_lo, v4, v52, vcc_lo
	s_clause 0x2
	global_store_b32 v[9:10], v19, off
	global_store_b32 v[43:44], v28, off
	;; [unrolled: 1-line block ×3, first 2 shown]
	v_add_nc_u32_e32 v28, 0x78, v50
	v_mad_co_u64_u32 v[46:47], null, s13, v57, v[11:12]
	v_mov_b32_e32 v11, v54
	v_add_nc_u32_e32 v19, 0x50, v50
	v_perm_b32 v31, v6, v7, 0x5040100
	s_delay_alu instid0(VALU_DEP_3) | instskip(SKIP_1) | instid1(VALU_DEP_4)
	v_mad_co_u64_u32 v[47:48], null, s13, v50, v[11:12]
	v_mad_co_u64_u32 v[48:49], null, s12, v39, 0
	;; [unrolled: 1-line block ×3, first 2 shown]
	v_lshlrev_b64_e32 v[9:10], 2, v[45:46]
	s_delay_alu instid0(VALU_DEP_3) | instskip(NEXT) | instid1(VALU_DEP_2)
	v_dual_mov_b32 v54, v47 :: v_dual_mov_b32 v11, v49
	v_add_co_u32 v9, vcc_lo, v3, v9
	s_delay_alu instid0(VALU_DEP_2) | instskip(NEXT) | instid1(VALU_DEP_3)
	v_lshlrev_b64_e32 v[6:7], 2, v[53:54]
	v_mad_co_u64_u32 v[45:46], null, s13, v39, v[11:12]
	v_mad_co_u64_u32 v[46:47], null, s12, v28, 0
	v_mov_b32_e32 v11, v44
	s_wait_alu 0xfffd
	v_add_co_ci_u32_e32 v10, vcc_lo, v4, v10, vcc_lo
	v_add_co_u32 v6, vcc_lo, v3, v6
	v_mov_b32_e32 v49, v45
	v_mad_co_u64_u32 v[44:45], null, s13, v19, v[11:12]
	v_mov_b32_e32 v11, v47
	s_wait_alu 0xfffd
	v_add_co_ci_u32_e32 v7, vcc_lo, v4, v7, vcc_lo
	v_lshlrev_b64_e32 v[47:48], 2, v[48:49]
	v_perm_b32 v19, v14, v15, 0x5040100
	v_mad_co_u64_u32 v[49:50], null, s13, v28, v[11:12]
	v_perm_b32 v11, v16, v17, 0x5040100
	v_lshlrev_b64_e32 v[14:15], 2, v[43:44]
	v_add_co_u32 v16, vcc_lo, v3, v47
	s_wait_alu 0xfffd
	v_add_co_ci_u32_e32 v17, vcc_lo, v4, v48, vcc_lo
	v_mov_b32_e32 v47, v49
	s_clause 0x2
	global_store_b32 v[9:10], v31, off
	global_store_b32 v[6:7], v11, off
	;; [unrolled: 1-line block ×3, first 2 shown]
	v_add_co_u32 v9, vcc_lo, v3, v14
	s_wait_alu 0xfffd
	v_add_co_ci_u32_e32 v10, vcc_lo, v4, v15, vcc_lo
	v_lshlrev_b64_e32 v[6:7], 2, v[46:47]
	v_perm_b32 v11, v12, v13, 0x5040100
	s_delay_alu instid0(VALU_DEP_2) | instskip(SKIP_1) | instid1(VALU_DEP_3)
	v_add_co_u32 v6, vcc_lo, v3, v6
	s_wait_alu 0xfffd
	v_add_co_ci_u32_e32 v7, vcc_lo, v4, v7, vcc_lo
	s_clause 0x1
	global_store_b32 v[9:10], v11, off
	global_store_b32 v[6:7], v5, off
.LBB0_37:
	s_wait_alu 0xfffe
	s_or_b32 exec_lo, exec_lo, s4
.LBB0_38:
	s_and_saveexec_b32 s0, s3
	s_cbranch_execnz .LBB0_40
; %bb.39:
	s_nop 0
	s_sendmsg sendmsg(MSG_DEALLOC_VGPRS)
	s_endpgm
.LBB0_40:
	s_wait_loadcnt 0x0
	v_lshrrev_b32_e32 v5, 16, v0
	v_lshrrev_b32_e32 v6, 16, v1
	;; [unrolled: 1-line block ×5, first 2 shown]
	v_mul_f16_e32 v9, v27, v5
	v_mul_f16_e32 v5, v26, v5
	;; [unrolled: 1-line block ×6, first 2 shown]
	v_fma_f16 v9, v26, v0, -v9
	v_fma_f16 v10, v22, v1, -v10
	;; [unrolled: 1-line block ×3, first 2 shown]
	v_fmac_f16_e32 v5, v27, v0
	v_fmac_f16_e32 v6, v7, v1
	;; [unrolled: 1-line block ×3, first 2 shown]
	v_sub_f16_e32 v0, v25, v10
	v_sub_f16_e32 v1, v9, v11
	v_lshrrev_b32_e32 v10, 16, v41
	v_sub_f16_e32 v2, v24, v6
	v_sub_f16_e32 v6, v5, v8
	v_fma_f16 v7, v25, 2.0, -v0
	v_fma_f16 v8, v9, 2.0, -v1
	v_lshrrev_b32_e32 v9, 16, v42
	v_fma_f16 v11, v24, 2.0, -v2
	v_fma_f16 v5, v5, 2.0, -v6
	v_sub_f16_e32 v13, v0, v6
	v_sub_f16_e32 v8, v7, v8
	v_mul_f16_e32 v12, v9, v10
	v_add_f16_e32 v15, v2, v1
	v_sub_f16_e32 v14, v11, v5
	v_mul_f16_e32 v1, v42, v10
	v_fma_f16 v5, v7, 2.0, -v8
	v_fma_f16 v6, v42, v41, -v12
	v_lshrrev_b32_e32 v7, 16, v40
	v_fma_f16 v10, v11, 2.0, -v14
	v_fmac_f16_e32 v1, v9, v41
	v_lshrrev_b32_e32 v11, 16, v37
	v_lshrrev_b32_e32 v12, 16, v38
	v_mul_f16_e32 v9, v6, v7
	v_lshrrev_b32_e32 v17, 16, v35
	v_mul_f16_e32 v7, v1, v7
	v_lshrrev_b32_e32 v20, 16, v34
	v_fma_f16 v0, v0, 2.0, -v13
	v_fmac_f16_e32 v9, v40, v1
	v_mul_f16_e32 v1, v11, v12
	v_mul_f16_e32 v12, v37, v12
	v_fma_f16 v6, v40, v6, -v7
	v_mul_f16_e32 v7, v16, v17
	v_mul_f16_e32 v17, v36, v17
	v_fma_f16 v1, v37, v38, -v1
	v_fmac_f16_e32 v12, v11, v38
	v_lshrrev_b32_e32 v11, 16, v33
	v_fma_f16 v7, v36, v35, -v7
	v_mul_f16_e32 v19, v10, v9
	v_fmac_f16_e32 v17, v16, v35
	v_fma_f16 v2, v2, 2.0, -v15
	v_mul_f16_e32 v21, v12, v11
	v_mul_f16_e32 v11, v1, v11
	;; [unrolled: 1-line block ×4, first 2 shown]
	v_lshrrev_b32_e32 v9, 16, v32
	v_fma_f16 v19, v5, v6, -v19
	v_fmac_f16_e32 v11, v33, v12
	v_lshrrev_b32_e32 v12, 16, v30
	v_fma_f16 v1, v33, v1, -v21
	v_mul_f16_e32 v5, v17, v20
	v_fmac_f16_e32 v16, v34, v17
	v_mul_f16_e32 v20, v0, v11
	v_mul_f16_e32 v17, v2, v11
	;; [unrolled: 1-line block ×3, first 2 shown]
	v_fma_f16 v7, v34, v7, -v5
	v_mul_f16_e32 v5, v14, v16
	v_fmac_f16_e32 v20, v2, v1
	v_mul_f16_e32 v2, v32, v12
	v_add_nc_u32_e32 v12, 0x48, v18
	v_fmac_f16_e32 v22, v10, v6
	v_fma_f16 v11, v32, v30, -v11
	v_lshrrev_b32_e32 v10, 16, v29
	v_fma_f16 v17, v0, v1, -v17
	v_mad_co_u64_u32 v[0:1], null, s12, v23, 0
	v_fma_f16 v21, v8, v7, -v5
	v_mad_co_u64_u32 v[5:6], null, s12, v12, 0
	v_mul_f16_e32 v16, v8, v16
	v_fmac_f16_e32 v2, v9, v30
	v_mul_f16_e32 v24, v11, v10
	v_or_b32_e32 v25, 0x70, v18
	v_add_nc_u32_e32 v18, 0x98, v18
	v_fmac_f16_e32 v16, v14, v7
	v_mul_f16_e32 v14, v2, v10
	v_fmac_f16_e32 v24, v29, v2
	v_mad_co_u64_u32 v[1:2], null, s13, v23, v[1:2]
	v_mov_b32_e32 v2, v6
	v_mad_co_u64_u32 v[7:8], null, s12, v25, 0
	s_delay_alu instid0(VALU_DEP_4) | instskip(NEXT) | instid1(VALU_DEP_3)
	v_mul_f16_e32 v23, v13, v24
	v_mad_co_u64_u32 v[9:10], null, s13, v12, v[2:3]
	v_fma_f16 v12, v29, v11, -v14
	v_mad_co_u64_u32 v[10:11], null, s12, v18, 0
	v_mov_b32_e32 v2, v8
	v_mul_f16_e32 v14, v15, v24
	v_lshlrev_b64_e32 v[0:1], 2, v[0:1]
	v_mov_b32_e32 v6, v9
	v_fmac_f16_e32 v23, v15, v12
	v_mad_co_u64_u32 v[8:9], null, s13, v25, v[2:3]
	v_mov_b32_e32 v2, v11
	v_fma_f16 v13, v13, v12, -v14
	v_lshlrev_b64_e32 v[5:6], 2, v[5:6]
	v_add_co_u32 v0, vcc_lo, v3, v0
	s_delay_alu instid0(VALU_DEP_4)
	v_mad_co_u64_u32 v[11:12], null, s13, v18, v[2:3]
	v_lshlrev_b64_e32 v[7:8], 2, v[7:8]
	s_wait_alu 0xfffd
	v_add_co_ci_u32_e32 v1, vcc_lo, v4, v1, vcc_lo
	v_add_co_u32 v5, vcc_lo, v3, v5
	s_wait_alu 0xfffd
	v_add_co_ci_u32_e32 v6, vcc_lo, v4, v6, vcc_lo
	v_lshlrev_b64_e32 v[9:10], 2, v[10:11]
	v_add_co_u32 v7, vcc_lo, v3, v7
	v_pack_b32_f16 v12, v19, v22
	s_wait_alu 0xfffd
	v_add_co_ci_u32_e32 v8, vcc_lo, v4, v8, vcc_lo
	v_pack_b32_f16 v14, v17, v20
	v_add_co_u32 v2, vcc_lo, v3, v9
	v_pack_b32_f16 v11, v21, v16
	s_wait_alu 0xfffd
	v_add_co_ci_u32_e32 v3, vcc_lo, v4, v10, vcc_lo
	v_pack_b32_f16 v4, v13, v23
	s_clause 0x3
	global_store_b32 v[0:1], v12, off
	global_store_b32 v[5:6], v14, off
	;; [unrolled: 1-line block ×4, first 2 shown]
	s_nop 0
	s_sendmsg sendmsg(MSG_DEALLOC_VGPRS)
	s_endpgm
	.section	.rodata,"a",@progbits
	.p2align	6, 0x0
	.amdhsa_kernel fft_rtc_fwd_len160_factors_4_10_4_wgs_192_tpt_16_half_ip_CI_sbcc_twdbase5_3step_dirReg
		.amdhsa_group_segment_fixed_size 0
		.amdhsa_private_segment_fixed_size 0
		.amdhsa_kernarg_size 96
		.amdhsa_user_sgpr_count 2
		.amdhsa_user_sgpr_dispatch_ptr 0
		.amdhsa_user_sgpr_queue_ptr 0
		.amdhsa_user_sgpr_kernarg_segment_ptr 1
		.amdhsa_user_sgpr_dispatch_id 0
		.amdhsa_user_sgpr_private_segment_size 0
		.amdhsa_wavefront_size32 1
		.amdhsa_uses_dynamic_stack 0
		.amdhsa_enable_private_segment 0
		.amdhsa_system_sgpr_workgroup_id_x 1
		.amdhsa_system_sgpr_workgroup_id_y 0
		.amdhsa_system_sgpr_workgroup_id_z 0
		.amdhsa_system_sgpr_workgroup_info 0
		.amdhsa_system_vgpr_workitem_id 0
		.amdhsa_next_free_vgpr 91
		.amdhsa_next_free_sgpr 51
		.amdhsa_reserve_vcc 1
		.amdhsa_float_round_mode_32 0
		.amdhsa_float_round_mode_16_64 0
		.amdhsa_float_denorm_mode_32 3
		.amdhsa_float_denorm_mode_16_64 3
		.amdhsa_fp16_overflow 0
		.amdhsa_workgroup_processor_mode 1
		.amdhsa_memory_ordered 1
		.amdhsa_forward_progress 0
		.amdhsa_round_robin_scheduling 0
		.amdhsa_exception_fp_ieee_invalid_op 0
		.amdhsa_exception_fp_denorm_src 0
		.amdhsa_exception_fp_ieee_div_zero 0
		.amdhsa_exception_fp_ieee_overflow 0
		.amdhsa_exception_fp_ieee_underflow 0
		.amdhsa_exception_fp_ieee_inexact 0
		.amdhsa_exception_int_div_zero 0
	.end_amdhsa_kernel
	.text
.Lfunc_end0:
	.size	fft_rtc_fwd_len160_factors_4_10_4_wgs_192_tpt_16_half_ip_CI_sbcc_twdbase5_3step_dirReg, .Lfunc_end0-fft_rtc_fwd_len160_factors_4_10_4_wgs_192_tpt_16_half_ip_CI_sbcc_twdbase5_3step_dirReg
                                        ; -- End function
	.section	.AMDGPU.csdata,"",@progbits
; Kernel info:
; codeLenInByte = 10020
; NumSgprs: 53
; NumVgprs: 91
; ScratchSize: 0
; MemoryBound: 0
; FloatMode: 240
; IeeeMode: 1
; LDSByteSize: 0 bytes/workgroup (compile time only)
; SGPRBlocks: 6
; VGPRBlocks: 11
; NumSGPRsForWavesPerEU: 53
; NumVGPRsForWavesPerEU: 91
; Occupancy: 15
; WaveLimiterHint : 1
; COMPUTE_PGM_RSRC2:SCRATCH_EN: 0
; COMPUTE_PGM_RSRC2:USER_SGPR: 2
; COMPUTE_PGM_RSRC2:TRAP_HANDLER: 0
; COMPUTE_PGM_RSRC2:TGID_X_EN: 1
; COMPUTE_PGM_RSRC2:TGID_Y_EN: 0
; COMPUTE_PGM_RSRC2:TGID_Z_EN: 0
; COMPUTE_PGM_RSRC2:TIDIG_COMP_CNT: 0
	.text
	.p2alignl 7, 3214868480
	.fill 96, 4, 3214868480
	.type	__hip_cuid_1e6800992b660bcf,@object ; @__hip_cuid_1e6800992b660bcf
	.section	.bss,"aw",@nobits
	.globl	__hip_cuid_1e6800992b660bcf
__hip_cuid_1e6800992b660bcf:
	.byte	0                               ; 0x0
	.size	__hip_cuid_1e6800992b660bcf, 1

	.ident	"AMD clang version 19.0.0git (https://github.com/RadeonOpenCompute/llvm-project roc-6.4.0 25133 c7fe45cf4b819c5991fe208aaa96edf142730f1d)"
	.section	".note.GNU-stack","",@progbits
	.addrsig
	.addrsig_sym __hip_cuid_1e6800992b660bcf
	.amdgpu_metadata
---
amdhsa.kernels:
  - .args:
      - .actual_access:  read_only
        .address_space:  global
        .offset:         0
        .size:           8
        .value_kind:     global_buffer
      - .address_space:  global
        .offset:         8
        .size:           8
        .value_kind:     global_buffer
      - .offset:         16
        .size:           8
        .value_kind:     by_value
      - .actual_access:  read_only
        .address_space:  global
        .offset:         24
        .size:           8
        .value_kind:     global_buffer
      - .actual_access:  read_only
        .address_space:  global
        .offset:         32
        .size:           8
        .value_kind:     global_buffer
      - .offset:         40
        .size:           8
        .value_kind:     by_value
      - .actual_access:  read_only
        .address_space:  global
        .offset:         48
        .size:           8
        .value_kind:     global_buffer
      - .actual_access:  read_only
        .address_space:  global
        .offset:         56
        .size:           8
        .value_kind:     global_buffer
      - .offset:         64
        .size:           4
        .value_kind:     by_value
      - .actual_access:  read_only
        .address_space:  global
        .offset:         72
        .size:           8
        .value_kind:     global_buffer
      - .actual_access:  read_only
        .address_space:  global
        .offset:         80
        .size:           8
        .value_kind:     global_buffer
      - .address_space:  global
        .offset:         88
        .size:           8
        .value_kind:     global_buffer
    .group_segment_fixed_size: 0
    .kernarg_segment_align: 8
    .kernarg_segment_size: 96
    .language:       OpenCL C
    .language_version:
      - 2
      - 0
    .max_flat_workgroup_size: 192
    .name:           fft_rtc_fwd_len160_factors_4_10_4_wgs_192_tpt_16_half_ip_CI_sbcc_twdbase5_3step_dirReg
    .private_segment_fixed_size: 0
    .sgpr_count:     53
    .sgpr_spill_count: 0
    .symbol:         fft_rtc_fwd_len160_factors_4_10_4_wgs_192_tpt_16_half_ip_CI_sbcc_twdbase5_3step_dirReg.kd
    .uniform_work_group_size: 1
    .uses_dynamic_stack: false
    .vgpr_count:     91
    .vgpr_spill_count: 0
    .wavefront_size: 32
    .workgroup_processor_mode: 1
amdhsa.target:   amdgcn-amd-amdhsa--gfx1201
amdhsa.version:
  - 1
  - 2
...

	.end_amdgpu_metadata
